;; amdgpu-corpus repo=ROCm/rocSPARSE kind=compiled arch=gfx1250 opt=O3
	.amdgcn_target "amdgcn-amd-amdhsa--gfx1250"
	.amdhsa_code_object_version 6
	.section	.text._ZN9rocsparseL19gpsv_strided_gatherILj256EfEEviiiPKT0_PS1_,"axG",@progbits,_ZN9rocsparseL19gpsv_strided_gatherILj256EfEEviiiPKT0_PS1_,comdat
	.globl	_ZN9rocsparseL19gpsv_strided_gatherILj256EfEEviiiPKT0_PS1_ ; -- Begin function _ZN9rocsparseL19gpsv_strided_gatherILj256EfEEviiiPKT0_PS1_
	.p2align	8
	.type	_ZN9rocsparseL19gpsv_strided_gatherILj256EfEEviiiPKT0_PS1_,@function
_ZN9rocsparseL19gpsv_strided_gatherILj256EfEEviiiPKT0_PS1_: ; @_ZN9rocsparseL19gpsv_strided_gatherILj256EfEEviiiPKT0_PS1_
; %bb.0:
	s_clause 0x1
	s_load_b32 s2, s[0:1], 0x2c
	s_load_b96 s[4:6], s[0:1], 0x0
	s_bfe_u32 s3, ttmp6, 0x4000c
	s_and_b32 s7, ttmp6, 15
	s_add_co_i32 s3, s3, 1
	s_getreg_b32 s8, hwreg(HW_REG_IB_STS2, 6, 4)
	s_mul_i32 s3, ttmp9, s3
	s_delay_alu instid0(SALU_CYCLE_1)
	s_add_co_i32 s7, s7, s3
	s_wait_kmcnt 0x0
	s_and_b32 s2, s2, 0xffff
	s_cmp_eq_u32 s8, 0
	s_cselect_b32 s7, ttmp9, s7
	s_cmp_gt_i32 s4, 0
	s_mul_i32 s7, s7, s2
	s_cselect_b32 s2, -1, 0
	v_add_nc_u32_e32 v2, s7, v0
	s_delay_alu instid0(VALU_DEP_1) | instskip(SKIP_1) | instid1(SALU_CYCLE_1)
	v_cmp_gt_i32_e32 vcc_lo, s5, v2
	s_and_b32 s2, vcc_lo, s2
	s_and_saveexec_b32 s3, s2
	s_cbranch_execz .LBB0_10
; %bb.1:
	s_load_b128 s[0:3], s[0:1], 0x10
	s_cmp_lt_u32 s4, 6
	s_cselect_b32 s9, -1, 0
	s_delay_alu instid0(SALU_CYCLE_1)
	s_and_b32 vcc_lo, exec_lo, s9
	s_cbranch_vccnz .LBB0_6
; %bb.2:
	v_add3_u32 v1, s4, -1, v2
	s_cmp_eq_u32 s6, 1
	s_cselect_b32 s8, -1, 0
	s_cmp_eq_u32 s5, 1
	s_delay_alu instid0(VALU_DEP_1)
	v_cmp_ge_i32_e32 vcc_lo, v1, v2
	s_cselect_b32 s9, -1, 0
	v_mov_b32_e32 v1, 0
	s_and_b32 s8, s8, s9
	s_mov_b32 s9, -1
	s_and_b32 s10, s8, vcc_lo
	s_delay_alu instid0(SALU_CYCLE_1)
	s_and_saveexec_b32 s8, s10
	s_cbranch_execz .LBB0_7
; %bb.3:
	s_and_b32 s9, s4, 0x7ffffffe
	s_delay_alu instid0(SALU_CYCLE_1)
	s_mov_b32 s10, s9
.LBB0_4:                                ; =>This Inner Loop Header: Depth=1
	v_ashrrev_i32_e32 v3, 31, v2
	s_add_co_i32 s10, s10, -2
	s_delay_alu instid0(SALU_CYCLE_1) | instskip(SKIP_1) | instid1(VALU_DEP_1)
	s_cmp_lg_u32 s10, 0
	s_wait_xcnt 0x0
	v_lshlrev_b64_e32 v[4:5], 2, v[2:3]
	v_add_nc_u32_e32 v2, 2, v2
	s_wait_kmcnt 0x0
	s_delay_alu instid0(VALU_DEP_2)
	v_add_nc_u64_e32 v[6:7], s[0:1], v[4:5]
	v_add_nc_u64_e32 v[4:5], s[2:3], v[4:5]
	global_load_b64 v[6:7], v[6:7], off
	s_wait_loadcnt 0x0
	global_store_b64 v[4:5], v[6:7], off
	s_cbranch_scc1 .LBB0_4
; %bb.5:
	s_cmp_lg_u32 s4, s9
	v_mov_b32_e32 v1, s9
	s_cselect_b32 s9, -1, 0
	s_delay_alu instid0(SALU_CYCLE_1) | instskip(SKIP_2) | instid1(SALU_CYCLE_1)
	s_or_not1_b32 s9, s9, exec_lo
	s_wait_xcnt 0x0
	s_or_b32 exec_lo, exec_lo, s8
	s_and_b32 exec_lo, exec_lo, s9
	s_cbranch_execnz .LBB0_8
	s_branch .LBB0_10
.LBB0_6:
	v_mov_b32_e32 v1, 0
	s_and_b32 exec_lo, exec_lo, s9
	s_cbranch_execnz .LBB0_8
	s_branch .LBB0_10
.LBB0_7:
	s_or_b32 exec_lo, exec_lo, s8
	s_delay_alu instid0(SALU_CYCLE_1)
	s_and_b32 exec_lo, exec_lo, s9
	s_cbranch_execz .LBB0_10
.LBB0_8:
	s_delay_alu instid0(VALU_DEP_1) | instskip(SKIP_3) | instid1(VALU_DEP_3)
	v_mul_lo_u32 v2, v1, s5
	v_mul_lo_u32 v3, v1, s6
	v_sub_nc_u32_e32 v1, s4, v1
	s_mov_b32 s4, 0
	v_add3_u32 v2, v0, v2, s7
	s_delay_alu instid0(VALU_DEP_3)
	v_add3_u32 v0, v0, v3, s7
.LBB0_9:                                ; =>This Inner Loop Header: Depth=1
	s_wait_kmcnt 0x0
	global_load_b32 v3, v0, s[0:1] scale_offset
	s_wait_xcnt 0x0
	v_dual_add_nc_u32 v1, -1, v1 :: v_dual_add_nc_u32 v0, s6, v0
	s_delay_alu instid0(VALU_DEP_1)
	v_cmp_eq_u32_e32 vcc_lo, 0, v1
	s_or_b32 s4, vcc_lo, s4
	s_wait_loadcnt 0x0
	global_store_b32 v2, v3, s[2:3] scale_offset
	s_wait_xcnt 0x0
	v_add_nc_u32_e32 v2, s5, v2
	s_and_not1_b32 exec_lo, exec_lo, s4
	s_cbranch_execnz .LBB0_9
.LBB0_10:
	s_endpgm
	.section	.rodata,"a",@progbits
	.p2align	6, 0x0
	.amdhsa_kernel _ZN9rocsparseL19gpsv_strided_gatherILj256EfEEviiiPKT0_PS1_
		.amdhsa_group_segment_fixed_size 0
		.amdhsa_private_segment_fixed_size 0
		.amdhsa_kernarg_size 288
		.amdhsa_user_sgpr_count 2
		.amdhsa_user_sgpr_dispatch_ptr 0
		.amdhsa_user_sgpr_queue_ptr 0
		.amdhsa_user_sgpr_kernarg_segment_ptr 1
		.amdhsa_user_sgpr_dispatch_id 0
		.amdhsa_user_sgpr_kernarg_preload_length 0
		.amdhsa_user_sgpr_kernarg_preload_offset 0
		.amdhsa_user_sgpr_private_segment_size 0
		.amdhsa_wavefront_size32 1
		.amdhsa_uses_dynamic_stack 0
		.amdhsa_enable_private_segment 0
		.amdhsa_system_sgpr_workgroup_id_x 1
		.amdhsa_system_sgpr_workgroup_id_y 0
		.amdhsa_system_sgpr_workgroup_id_z 0
		.amdhsa_system_sgpr_workgroup_info 0
		.amdhsa_system_vgpr_workitem_id 0
		.amdhsa_next_free_vgpr 8
		.amdhsa_next_free_sgpr 11
		.amdhsa_named_barrier_count 0
		.amdhsa_reserve_vcc 1
		.amdhsa_float_round_mode_32 0
		.amdhsa_float_round_mode_16_64 0
		.amdhsa_float_denorm_mode_32 3
		.amdhsa_float_denorm_mode_16_64 3
		.amdhsa_fp16_overflow 0
		.amdhsa_memory_ordered 1
		.amdhsa_forward_progress 1
		.amdhsa_inst_pref_size 4
		.amdhsa_round_robin_scheduling 0
		.amdhsa_exception_fp_ieee_invalid_op 0
		.amdhsa_exception_fp_denorm_src 0
		.amdhsa_exception_fp_ieee_div_zero 0
		.amdhsa_exception_fp_ieee_overflow 0
		.amdhsa_exception_fp_ieee_underflow 0
		.amdhsa_exception_fp_ieee_inexact 0
		.amdhsa_exception_int_div_zero 0
	.end_amdhsa_kernel
	.section	.text._ZN9rocsparseL19gpsv_strided_gatherILj256EfEEviiiPKT0_PS1_,"axG",@progbits,_ZN9rocsparseL19gpsv_strided_gatherILj256EfEEviiiPKT0_PS1_,comdat
.Lfunc_end0:
	.size	_ZN9rocsparseL19gpsv_strided_gatherILj256EfEEviiiPKT0_PS1_, .Lfunc_end0-_ZN9rocsparseL19gpsv_strided_gatherILj256EfEEviiiPKT0_PS1_
                                        ; -- End function
	.set _ZN9rocsparseL19gpsv_strided_gatherILj256EfEEviiiPKT0_PS1_.num_vgpr, 8
	.set _ZN9rocsparseL19gpsv_strided_gatherILj256EfEEviiiPKT0_PS1_.num_agpr, 0
	.set _ZN9rocsparseL19gpsv_strided_gatherILj256EfEEviiiPKT0_PS1_.numbered_sgpr, 11
	.set _ZN9rocsparseL19gpsv_strided_gatherILj256EfEEviiiPKT0_PS1_.num_named_barrier, 0
	.set _ZN9rocsparseL19gpsv_strided_gatherILj256EfEEviiiPKT0_PS1_.private_seg_size, 0
	.set _ZN9rocsparseL19gpsv_strided_gatherILj256EfEEviiiPKT0_PS1_.uses_vcc, 1
	.set _ZN9rocsparseL19gpsv_strided_gatherILj256EfEEviiiPKT0_PS1_.uses_flat_scratch, 0
	.set _ZN9rocsparseL19gpsv_strided_gatherILj256EfEEviiiPKT0_PS1_.has_dyn_sized_stack, 0
	.set _ZN9rocsparseL19gpsv_strided_gatherILj256EfEEviiiPKT0_PS1_.has_recursion, 0
	.set _ZN9rocsparseL19gpsv_strided_gatherILj256EfEEviiiPKT0_PS1_.has_indirect_call, 0
	.section	.AMDGPU.csdata,"",@progbits
; Kernel info:
; codeLenInByte = 488
; TotalNumSgprs: 13
; NumVgprs: 8
; ScratchSize: 0
; MemoryBound: 0
; FloatMode: 240
; IeeeMode: 1
; LDSByteSize: 0 bytes/workgroup (compile time only)
; SGPRBlocks: 0
; VGPRBlocks: 0
; NumSGPRsForWavesPerEU: 13
; NumVGPRsForWavesPerEU: 8
; NamedBarCnt: 0
; Occupancy: 16
; WaveLimiterHint : 0
; COMPUTE_PGM_RSRC2:SCRATCH_EN: 0
; COMPUTE_PGM_RSRC2:USER_SGPR: 2
; COMPUTE_PGM_RSRC2:TRAP_HANDLER: 0
; COMPUTE_PGM_RSRC2:TGID_X_EN: 1
; COMPUTE_PGM_RSRC2:TGID_Y_EN: 0
; COMPUTE_PGM_RSRC2:TGID_Z_EN: 0
; COMPUTE_PGM_RSRC2:TIDIG_COMP_CNT: 0
	.section	.text._ZN9rocsparseL44gpsv_interleaved_batch_householder_qr_kernelILj256EfEEviiiPT0_S2_S2_S2_S2_S2_S2_S2_S2_,"axG",@progbits,_ZN9rocsparseL44gpsv_interleaved_batch_householder_qr_kernelILj256EfEEviiiPT0_S2_S2_S2_S2_S2_S2_S2_S2_,comdat
	.globl	_ZN9rocsparseL44gpsv_interleaved_batch_householder_qr_kernelILj256EfEEviiiPT0_S2_S2_S2_S2_S2_S2_S2_S2_ ; -- Begin function _ZN9rocsparseL44gpsv_interleaved_batch_householder_qr_kernelILj256EfEEviiiPT0_S2_S2_S2_S2_S2_S2_S2_S2_
	.p2align	8
	.type	_ZN9rocsparseL44gpsv_interleaved_batch_householder_qr_kernelILj256EfEEviiiPT0_S2_S2_S2_S2_S2_S2_S2_S2_,@function
_ZN9rocsparseL44gpsv_interleaved_batch_householder_qr_kernelILj256EfEEviiiPT0_S2_S2_S2_S2_S2_S2_S2_S2_: ; @_ZN9rocsparseL44gpsv_interleaved_batch_householder_qr_kernelILj256EfEEviiiPT0_S2_S2_S2_S2_S2_S2_S2_S2_
; %bb.0:
	s_clause 0x1
	s_load_b32 s2, s[0:1], 0x64
	s_load_b96 s[12:14], s[0:1], 0x0
	s_bfe_u32 s3, ttmp6, 0x4000c
	s_and_b32 s4, ttmp6, 15
	s_add_co_i32 s3, s3, 1
	s_getreg_b32 s5, hwreg(HW_REG_IB_STS2, 6, 4)
	s_mul_i32 s3, ttmp9, s3
	s_delay_alu instid0(SALU_CYCLE_1) | instskip(SKIP_4) | instid1(SALU_CYCLE_1)
	s_add_co_i32 s4, s4, s3
	s_wait_kmcnt 0x0
	s_and_b32 s2, s2, 0xffff
	s_cmp_eq_u32 s5, 0
	s_cselect_b32 s3, ttmp9, s4
	s_mul_i32 s3, s3, s2
	s_mov_b32 s2, exec_lo
	v_add_nc_u32_e32 v1, s3, v0
	s_delay_alu instid0(VALU_DEP_1)
	v_cmpx_gt_i32_e64 s13, v1
	s_cbranch_execz .LBB1_24
; %bb.1:
	s_clause 0x3
	s_load_b64 s[16:17], s[0:1], 0x50
	s_load_b128 s[4:7], s[0:1], 0x40
	s_load_b128 s[8:11], s[0:1], 0x20
	s_load_b64 s[18:19], s[0:1], 0x30
	s_cmp_lt_i32 s12, 2
	s_cbranch_scc1 .LBB1_11
; %bb.2:
	s_load_b64 s[20:21], s[0:1], 0x18
	s_add_co_i32 s15, s12, -2
	s_mov_b32 s2, 0
	s_cmp_eq_u32 s15, 0
	s_cbranch_scc1 .LBB1_8
; %bb.3:
	s_load_b64 s[22:23], s[0:1], 0x10
	v_dual_add_nc_u32 v6, s13, v0 :: v_dual_add_nc_u32 v9, s14, v0
	v_lshl_add_u32 v7, s13, 1, v0
	v_lshl_add_u32 v8, s14, 1, v0
	v_dual_mov_b32 v10, v0 :: v_dual_mov_b32 v11, v0
	s_mov_b32 s24, 0
	s_branch .LBB1_5
.LBB1_4:                                ;   in Loop: Header=BB1_5 Depth=1
	s_wait_xcnt 0x0
	s_or_b32 exec_lo, exec_lo, s25
	v_dual_add_nc_u32 v11, s13, v11 :: v_dual_add_nc_u32 v6, s13, v6
	v_dual_add_nc_u32 v7, s13, v7 :: v_dual_add_nc_u32 v8, s14, v8
	;; [unrolled: 1-line block ×3, first 2 shown]
	s_add_co_i32 s24, s24, 1
	s_delay_alu instid0(SALU_CYCLE_1)
	s_cmp_eq_u32 s15, s24
	s_cbranch_scc1 .LBB1_7
.LBB1_5:                                ; =>This Inner Loop Header: Depth=1
	s_delay_alu instid0(VALU_DEP_1)
	v_dual_add_nc_u32 v2, s3, v8 :: v_dual_add_nc_u32 v4, s3, v9
	s_mov_b32 s25, exec_lo
	s_wait_kmcnt 0x0
	global_load_b32 v12, v2, s[22:23] scale_offset
	global_load_b32 v13, v4, s[20:21] scale_offset
	s_wait_loadcnt 0x1
	v_mul_f32_e32 v14, v12, v12
	s_wait_loadcnt 0x0
	s_delay_alu instid0(VALU_DEP_1) | instskip(SKIP_1) | instid1(VALU_DEP_1)
	v_fmac_f32_e32 v14, v13, v13
	s_wait_xcnt 0x0
	v_cmpx_neq_f32_e32 0, v14
	s_cbranch_execz .LBB1_4
; %bb.6:                                ;   in Loop: Header=BB1_5 Depth=1
	v_dual_add_nc_u32 v15, s3, v10 :: v_dual_ashrrev_i32 v5, 31, v4
	v_dual_ashrrev_i32 v3, 31, v2 :: v_dual_add_nc_u32 v32, s3, v11
	v_dual_add_nc_u32 v31, s3, v6 :: v_dual_add_nc_u32 v39, s3, v7
	global_load_b32 v30, v15, s[8:9] scale_offset
	v_lshlrev_b64_e32 v[16:17], 2, v[4:5]
	v_lshlrev_b64_e32 v[18:19], 2, v[2:3]
	s_clause 0x1
	global_load_b32 v33, v31, s[16:17] scale_offset
	global_load_b32 v34, v31, s[4:5] scale_offset
	v_lshl_add_u64 v[4:5], v[4:5], 2, s[20:21]
	v_lshl_add_u64 v[2:3], v[2:3], 2, s[22:23]
	v_add_nc_u64_e32 v[20:21], s[18:19], v[16:17]
	v_add_nc_u64_e32 v[22:23], s[10:11], v[18:19]
	;; [unrolled: 1-line block ×3, first 2 shown]
	global_load_b32 v35, v[20:21], off
	s_clause 0x2
	global_load_b32 v36, v32, s[4:5] scale_offset
	global_load_b32 v37, v32, s[6:7] scale_offset
	global_load_b32 v38, v32, s[16:17] scale_offset
	global_load_b32 v40, v[22:23], off
	global_load_b32 v41, v[24:25], off
	global_load_b32 v42, v39, s[16:17] scale_offset
	s_clause 0x1
	global_load_b32 v43, v15, s[10:11] scale_offset
	global_load_b32 v44, v15, s[18:19] scale_offset
	s_wait_loadcnt 0xb
	v_fma_f32 v26, v30, v30, v14
	s_delay_alu instid0(VALU_DEP_1) | instskip(SKIP_1) | instid1(VALU_DEP_2)
	v_mul_f32_e32 v27, 0x4f800000, v26
	v_cmp_gt_f32_e32 vcc_lo, 0xf800000, v26
	v_cndmask_b32_e32 v26, v26, v27, vcc_lo
	s_delay_alu instid0(VALU_DEP_1) | instskip(SKIP_1) | instid1(TRANS32_DEP_1)
	v_sqrt_f32_e32 v27, v26
	v_nop
	v_dual_add_nc_u32 v28, -1, v27 :: v_dual_add_nc_u32 v29, 1, v27
	s_delay_alu instid0(VALU_DEP_1) | instskip(NEXT) | instid1(VALU_DEP_1)
	v_dual_fma_f32 v45, -v28, v27, v26 :: v_dual_fma_f32 v46, -v29, v27, v26
	v_cmp_ge_f32_e64 s2, 0, v45
	s_delay_alu instid0(VALU_DEP_1) | instskip(NEXT) | instid1(VALU_DEP_3)
	v_cndmask_b32_e64 v27, v27, v28, s2
	v_cmp_lt_f32_e64 s2, 0, v46
	s_delay_alu instid0(VALU_DEP_1) | instskip(NEXT) | instid1(VALU_DEP_1)
	v_cndmask_b32_e64 v27, v27, v29, s2
	v_mul_f32_e32 v28, 0x37800000, v27
	s_delay_alu instid0(VALU_DEP_1) | instskip(SKIP_1) | instid1(VALU_DEP_2)
	v_cndmask_b32_e32 v27, v27, v28, vcc_lo
	v_cmp_class_f32_e64 vcc_lo, v26, 0x260
	v_cndmask_b32_e32 v26, v27, v26, vcc_lo
	v_cmp_lt_f32_e32 vcc_lo, 0, v30
	s_delay_alu instid0(VALU_DEP_2) | instskip(NEXT) | instid1(VALU_DEP_1)
	v_cndmask_b32_e64 v26, -v26, v26, vcc_lo
	v_add_f32_e32 v26, v30, v26
	s_delay_alu instid0(VALU_DEP_1) | instskip(SKIP_2) | instid1(VALU_DEP_3)
	v_div_scale_f32 v27, null, v26, v26, v13
	v_div_scale_f32 v28, null, v26, v26, v12
	v_div_scale_f32 v48, vcc_lo, v13, v26, v13
	v_rcp_f32_e32 v29, v27
	s_delay_alu instid0(VALU_DEP_2) | instskip(NEXT) | instid1(TRANS32_DEP_2)
	v_rcp_f32_e32 v45, v28
	v_fma_f32 v46, -v27, v29, 1.0
	s_delay_alu instid0(TRANS32_DEP_1) | instskip(NEXT) | instid1(VALU_DEP_2)
	v_fma_f32 v47, -v28, v45, 1.0
	v_fmac_f32_e32 v29, v46, v29
	v_div_scale_f32 v46, s2, v12, v26, v12
	s_delay_alu instid0(VALU_DEP_3) | instskip(NEXT) | instid1(VALU_DEP_3)
	v_fmac_f32_e32 v45, v47, v45
	v_mul_f32_e32 v47, v48, v29
	s_delay_alu instid0(VALU_DEP_1) | instskip(NEXT) | instid1(VALU_DEP_1)
	v_dual_mul_f32 v49, v46, v45 :: v_dual_fma_f32 v50, -v27, v47, v48
	v_fma_f32 v51, -v28, v49, v46
	s_delay_alu instid0(VALU_DEP_2) | instskip(NEXT) | instid1(VALU_DEP_2)
	v_fmac_f32_e32 v47, v50, v29
	v_fmac_f32_e32 v49, v51, v45
	s_delay_alu instid0(VALU_DEP_2) | instskip(NEXT) | instid1(VALU_DEP_1)
	v_fma_f32 v27, -v27, v47, v48
	v_div_fmas_f32 v27, v27, v29, v47
	s_delay_alu instid0(VALU_DEP_3) | instskip(SKIP_1) | instid1(VALU_DEP_1)
	v_dual_mul_f32 v29, v26, v26 :: v_dual_fma_f32 v28, -v28, v49, v46
	s_mov_b32 vcc_lo, s2
	v_add_f32_e32 v46, v29, v29
	s_delay_alu instid0(VALU_DEP_2) | instskip(SKIP_1) | instid1(VALU_DEP_2)
	v_div_fmas_f32 v28, v28, v45, v49
	v_div_fixup_f32 v45, v27, v26, v13
	v_div_fixup_f32 v47, v28, v26, v12
	s_delay_alu instid0(VALU_DEP_2)
	v_fma_f32 v48, v45, v45, 1.0
	v_fmac_f32_e32 v14, v26, v26
	v_add_nc_u64_e32 v[28:29], s[8:9], v[16:17]
	v_add_nc_u64_e32 v[16:17], s[10:11], v[16:17]
	s_wait_loadcnt 0x6
	v_dual_fma_f32 v34, v45, v34, v37 :: v_dual_fmac_f32 v48, v47, v47
	v_div_scale_f32 v49, null, v14, v14, v46
	v_div_scale_f32 v53, vcc_lo, v46, v14, v46
	s_delay_alu instid0(VALU_DEP_3) | instskip(NEXT) | instid1(VALU_DEP_3)
	v_div_scale_f32 v51, null, v48, v48, 2.0
	v_rcp_f32_e32 v50, v49
	v_div_scale_f32 v56, s2, 2.0, v48, 2.0
	s_delay_alu instid0(VALU_DEP_2)
	v_rcp_f32_e32 v52, v51
	global_load_b32 v58, v[16:17], off
	s_wait_loadcnt 0x4
	v_fmac_f32_e32 v34, v47, v41
	v_fma_f32 v13, v45, v13, v30
	v_fma_f32 v26, -v49, v50, 1.0
	v_fma_f32 v54, -v51, v52, 1.0
	s_delay_alu instid0(VALU_DEP_2) | instskip(SKIP_2) | instid1(VALU_DEP_4)
	v_dual_fmac_f32 v13, v47, v12 :: v_dual_fmac_f32 v50, v26, v50
	v_add_nc_u64_e32 v[26:27], s[20:21], v[18:19]
	v_add_nc_u64_e32 v[18:19], s[8:9], v[18:19]
	v_fmac_f32_e32 v52, v54, v52
	global_load_b32 v54, v[28:29], off
	v_mul_f32_e32 v55, v53, v50
	global_load_b32 v60, v[26:27], off
	v_dual_fma_f32 v57, -v49, v55, v53 :: v_dual_mul_f32 v59, v56, v52
	s_delay_alu instid0(VALU_DEP_1) | instskip(SKIP_4) | instid1(VALU_DEP_3)
	v_fmac_f32_e32 v55, v57, v50
	global_load_b32 v57, v[18:19], off
	v_fma_f32 v61, -v51, v59, v56
	v_fma_f32 v49, -v49, v55, v53
	v_fma_f32 v53, v45, v33, v38
	v_fmac_f32_e32 v59, v61, v52
	s_delay_alu instid0(VALU_DEP_3)
	v_div_fmas_f32 v49, v49, v50, v55
	v_fma_f32 v50, v45, v35, v36
	s_mov_b32 vcc_lo, s2
	s_wait_loadcnt 0x6
	v_fmac_f32_e32 v53, v47, v42
	v_div_fixup_f32 v14, v49, v14, v46
	v_fmac_f32_e32 v50, v47, v40
	s_delay_alu instid0(VALU_DEP_2) | instskip(NEXT) | instid1(VALU_DEP_1)
	v_dual_fma_f32 v51, -v51, v59, v56 :: v_dual_fma_f32 v37, -v34, v14, v37
	v_div_fmas_f32 v46, v51, v52, v59
	s_delay_alu instid0(VALU_DEP_1)
	v_div_fixup_f32 v46, v46, v48, 2.0
	s_wait_loadcnt 0x3
	v_fma_f32 v49, v45, v58, v44
	v_fma_f32 v36, -v50, v14, v36
	s_wait_loadcnt 0x2
	v_fma_f32 v48, v45, v54, v43
	s_wait_loadcnt 0x1
	s_delay_alu instid0(VALU_DEP_1)
	v_dual_fma_f32 v38, -v53, v46, v38 :: v_dual_fmac_f32 v48, v47, v60
	s_wait_loadcnt 0x0
	v_fmac_f32_e32 v49, v47, v57
	s_clause 0x1
	global_store_b32 v32, v36, s[4:5] scale_offset
	global_load_b32 v36, v31, s[4:5] scale_offset
	global_store_b32 v[4:5], v45, off
	global_store_b32 v[2:3], v47, off
	s_wait_xcnt 0x0
	v_dual_mul_f32 v2, v48, v14 :: v_dual_mul_f32 v3, v49, v14
	v_dual_fma_f32 v4, -v13, v14, v30 :: v_dual_fma_f32 v5, -v48, v14, v43
	v_dual_fma_f32 v12, -v49, v14, v44 :: v_dual_mul_f32 v13, v50, v14
	v_mul_f32_e32 v14, v34, v14
	s_clause 0x2
	global_store_b32 v15, v4, s[8:9] scale_offset
	global_store_b32 v15, v5, s[10:11] scale_offset
	;; [unrolled: 1-line block ×3, first 2 shown]
	s_wait_xcnt 0x2
	v_fma_f32 v4, -v2, v45, v54
	s_wait_xcnt 0x0
	v_dual_fma_f32 v5, -v3, v45, v58 :: v_dual_fma_f32 v12, -v13, v45, v35
	v_dual_fma_f32 v2, -v2, v47, v60 :: v_dual_fma_f32 v3, -v3, v47, v57
	v_dual_fma_f32 v13, -v13, v47, v40 :: v_dual_fma_f32 v15, -v14, v47, v41
	global_store_b32 v[28:29], v4, off
	global_store_b32 v[16:17], v5, off
	;; [unrolled: 1-line block ×4, first 2 shown]
	s_wait_xcnt 0x0
	v_mul_f32_e32 v2, v53, v46
	global_store_b32 v[18:19], v3, off
	global_store_b32 v[22:23], v13, off
	;; [unrolled: 1-line block ×3, first 2 shown]
	v_dual_fma_f32 v4, -v45, v2, v33 :: v_dual_fma_f32 v2, -v47, v2, v42
	s_wait_loadcnt 0x0
	s_wait_xcnt 0x2
	v_fma_f32 v3, -v14, v45, v36
	s_clause 0x1
	global_store_b32 v32, v37, s[6:7] scale_offset
	global_store_b32 v32, v38, s[16:17] scale_offset
	s_clause 0x2
	global_store_b32 v31, v3, s[4:5] scale_offset
	global_store_b32 v31, v4, s[16:17] scale_offset
	;; [unrolled: 1-line block ×3, first 2 shown]
	s_branch .LBB1_4
.LBB1_7:
	s_mov_b32 s2, s15
.LBB1_8:
	s_delay_alu instid0(SALU_CYCLE_1) | instskip(SKIP_1) | instid1(VALU_DEP_1)
	v_mad_u32 v4, s2, s14, v1
	s_mov_b32 s15, exec_lo
	v_add_nc_u32_e32 v2, s14, v4
	s_wait_kmcnt 0x0
	global_load_b32 v5, v2, s[20:21] scale_offset
	s_wait_loadcnt 0x0
	v_fma_f32 v6, v5, v5, 0
	s_wait_xcnt 0x0
	s_delay_alu instid0(VALU_DEP_1)
	v_cmpx_neq_f32_e32 0, v6
	s_cbranch_execz .LBB1_10
; %bb.9:
	global_load_b32 v7, v4, s[8:9] scale_offset
	v_mad_u32 v1, s2, s13, v1
	s_delay_alu instid0(VALU_DEP_1) | instskip(NEXT) | instid1(VALU_DEP_1)
	v_dual_ashrrev_i32 v3, 31, v2 :: v_dual_add_nc_u32 v14, s13, v1
	v_lshlrev_b64_e32 v[8:9], 2, v[2:3]
	v_lshl_add_u64 v[2:3], v[2:3], 2, s[20:21]
	s_delay_alu instid0(VALU_DEP_2)
	v_add_nc_u64_e32 v[10:11], s[18:19], v[8:9]
	s_clause 0x1
	global_load_b32 v15, v1, s[4:5] scale_offset
	global_load_b32 v16, v1, s[6:7] scale_offset
	global_load_b32 v17, v[10:11], off
	s_clause 0x2
	global_load_b32 v18, v14, s[4:5] scale_offset
	global_load_b32 v19, v14, s[16:17] scale_offset
	;; [unrolled: 1-line block ×3, first 2 shown]
	s_clause 0x1
	global_load_b32 v21, v4, s[10:11] scale_offset
	global_load_b32 v22, v4, s[18:19] scale_offset
	s_wait_loadcnt 0x8
	v_fma_f32 v12, v7, v7, v6
	s_delay_alu instid0(VALU_DEP_1) | instskip(SKIP_1) | instid1(VALU_DEP_2)
	v_mul_f32_e32 v13, 0x4f800000, v12
	v_cmp_gt_f32_e32 vcc_lo, 0xf800000, v12
	v_cndmask_b32_e32 v12, v12, v13, vcc_lo
	s_delay_alu instid0(VALU_DEP_1) | instskip(SKIP_1) | instid1(TRANS32_DEP_1)
	v_sqrt_f32_e32 v13, v12
	v_nop
	v_dual_add_nc_u32 v23, -1, v13 :: v_dual_add_nc_u32 v24, 1, v13
	s_delay_alu instid0(VALU_DEP_1) | instskip(NEXT) | instid1(VALU_DEP_1)
	v_dual_fma_f32 v25, -v23, v13, v12 :: v_dual_fma_f32 v26, -v24, v13, v12
	v_cmp_ge_f32_e64 s2, 0, v25
	s_delay_alu instid0(VALU_DEP_1) | instskip(NEXT) | instid1(VALU_DEP_3)
	v_cndmask_b32_e64 v13, v13, v23, s2
	v_cmp_lt_f32_e64 s2, 0, v26
	s_delay_alu instid0(VALU_DEP_1) | instskip(NEXT) | instid1(VALU_DEP_1)
	v_cndmask_b32_e64 v13, v13, v24, s2
	v_mul_f32_e32 v23, 0x37800000, v13
	s_delay_alu instid0(VALU_DEP_1) | instskip(SKIP_1) | instid1(VALU_DEP_2)
	v_cndmask_b32_e32 v13, v13, v23, vcc_lo
	v_cmp_class_f32_e64 vcc_lo, v12, 0x260
	v_cndmask_b32_e32 v12, v13, v12, vcc_lo
	v_cmp_lt_f32_e32 vcc_lo, 0, v7
	s_delay_alu instid0(VALU_DEP_2) | instskip(NEXT) | instid1(VALU_DEP_1)
	v_cndmask_b32_e64 v12, -v12, v12, vcc_lo
	v_add_f32_e32 v12, v7, v12
	s_delay_alu instid0(VALU_DEP_1) | instskip(SKIP_2) | instid1(VALU_DEP_3)
	v_div_scale_f32 v13, null, v12, v12, v5
	v_div_scale_f32 v23, null, v12, v12, 0
	v_div_scale_f32 v28, vcc_lo, v5, v12, v5
	v_rcp_f32_e32 v24, v13
	s_delay_alu instid0(VALU_DEP_2) | instskip(SKIP_1) | instid1(TRANS32_DEP_2)
	v_rcp_f32_e32 v25, v23
	v_fmac_f32_e32 v6, v12, v12
	v_fma_f32 v26, -v13, v24, 1.0
	s_delay_alu instid0(TRANS32_DEP_1) | instskip(NEXT) | instid1(VALU_DEP_2)
	v_fma_f32 v27, -v23, v25, 1.0
	v_fmac_f32_e32 v24, v26, v24
	v_div_scale_f32 v26, s2, 0, v12, 0
	s_delay_alu instid0(VALU_DEP_2) | instskip(NEXT) | instid1(VALU_DEP_1)
	v_dual_fmac_f32 v25, v27, v25 :: v_dual_mul_f32 v27, v28, v24
	v_dual_mul_f32 v29, v26, v25 :: v_dual_fma_f32 v30, -v13, v27, v28
	s_delay_alu instid0(VALU_DEP_1) | instskip(NEXT) | instid1(VALU_DEP_1)
	v_dual_fma_f32 v31, -v23, v29, v26 :: v_dual_fmac_f32 v27, v30, v24
	v_dual_fmac_f32 v29, v31, v25 :: v_dual_fma_f32 v13, -v13, v27, v28
	s_delay_alu instid0(VALU_DEP_1) | instskip(NEXT) | instid1(VALU_DEP_2)
	v_fma_f32 v23, -v23, v29, v26
	v_div_fmas_f32 v13, v13, v24, v27
	s_mov_b32 vcc_lo, s2
	v_mul_f32_e32 v24, v12, v12
	s_delay_alu instid0(VALU_DEP_3) | instskip(NEXT) | instid1(VALU_DEP_3)
	v_div_fmas_f32 v23, v23, v25, v29
	v_div_fixup_f32 v25, v13, v12, v5
	s_delay_alu instid0(VALU_DEP_2) | instskip(NEXT) | instid1(VALU_DEP_2)
	v_div_fixup_f32 v23, v23, v12, 0
	v_fma_f32 v26, v25, v25, 1.0
	s_wait_loadcnt 0x4
	v_dual_add_f32 v24, v24, v24 :: v_dual_fma_f32 v18, v25, v18, v16
	s_delay_alu instid0(VALU_DEP_2) | instskip(NEXT) | instid1(VALU_DEP_2)
	v_dual_fma_f32 v5, v25, v5, v7 :: v_dual_fmac_f32 v26, v23, v23
	v_div_scale_f32 v27, null, v6, v6, v24
	v_div_scale_f32 v31, vcc_lo, v24, v6, v24
	s_delay_alu instid0(VALU_DEP_3) | instskip(NEXT) | instid1(VALU_DEP_3)
	v_div_scale_f32 v29, null, v26, v26, 2.0
	v_rcp_f32_e32 v28, v27
	v_div_scale_f32 v33, s2, 2.0, v26, 2.0
	s_delay_alu instid0(VALU_DEP_2) | instskip(SKIP_1) | instid1(TRANS32_DEP_2)
	v_rcp_f32_e32 v30, v29
	v_fmac_f32_e32 v18, 0, v23
	v_fma_f32 v12, -v27, v28, 1.0
	s_delay_alu instid0(VALU_DEP_1) | instskip(NEXT) | instid1(TRANS32_DEP_1)
	v_fmac_f32_e32 v28, v12, v28
	v_fma_f32 v12, -v29, v30, 1.0
	s_delay_alu instid0(VALU_DEP_1)
	v_dual_fmac_f32 v30, v12, v30 :: v_dual_mul_f32 v32, v31, v28
	v_add_nc_u64_e32 v[12:13], s[8:9], v[8:9]
	v_add_nc_u64_e32 v[8:9], s[10:11], v[8:9]
	global_load_b32 v36, v[12:13], off
	global_load_b32 v37, v[8:9], off
	v_dual_mul_f32 v35, v33, v30 :: v_dual_fma_f32 v34, -v27, v32, v31
	global_store_b32 v[2:3], v25, off
	v_dual_fmac_f32 v32, v34, v28 :: v_dual_fma_f32 v34, -v29, v35, v33
	s_delay_alu instid0(VALU_DEP_1) | instskip(SKIP_1) | instid1(VALU_DEP_2)
	v_fma_f32 v27, -v27, v32, v31
	s_wait_loadcnt 0x4
	v_dual_fmac_f32 v35, v34, v30 :: v_dual_fma_f32 v31, v25, v19, v20
	s_delay_alu instid0(VALU_DEP_2) | instskip(SKIP_2) | instid1(VALU_DEP_2)
	v_div_fmas_f32 v27, v27, v28, v32
	v_fma_f32 v28, v25, v17, v15
	s_mov_b32 vcc_lo, s2
	v_div_fixup_f32 v6, v27, v6, v24
	s_delay_alu instid0(VALU_DEP_2) | instskip(SKIP_1) | instid1(VALU_DEP_3)
	v_fmac_f32_e32 v28, 0, v23
	v_fma_f32 v29, -v29, v35, v33
	v_dual_fmac_f32 v31, 0, v23 :: v_dual_fma_f32 v16, -v18, v6, v16
	s_delay_alu instid0(VALU_DEP_3) | instskip(NEXT) | instid1(VALU_DEP_3)
	v_fma_f32 v15, -v28, v6, v15
	v_div_fmas_f32 v24, v29, v30, v35
	s_clause 0x1
	global_store_b32 v1, v15, s[4:5] scale_offset
	global_load_b32 v15, v14, s[4:5] scale_offset
	v_div_fixup_f32 v24, v24, v26, 2.0
	s_delay_alu instid0(VALU_DEP_1) | instskip(SKIP_2) | instid1(VALU_DEP_1)
	v_fma_f32 v20, -v31, v24, v20
	s_wait_loadcnt 0x1
	v_dual_fma_f32 v26, v25, v36, v21 :: v_dual_fma_f32 v27, v25, v37, v22
	v_dual_fmac_f32 v26, 0, v23 :: v_dual_fmac_f32 v27, 0, v23
	v_dual_fmac_f32 v5, 0, v23 :: v_dual_mul_f32 v23, v28, v6
	s_delay_alu instid0(VALU_DEP_2) | instskip(NEXT) | instid1(VALU_DEP_2)
	v_dual_mul_f32 v2, v26, v6 :: v_dual_mul_f32 v3, v27, v6
	v_dual_mul_f32 v18, v18, v6 :: v_dual_fma_f32 v5, -v5, v6, v7
	v_dual_fma_f32 v7, -v26, v6, v21 :: v_dual_fma_f32 v6, -v27, v6, v22
	s_delay_alu instid0(VALU_DEP_3)
	v_dual_fma_f32 v2, -v2, v25, v36 :: v_dual_fma_f32 v3, -v3, v25, v37
	s_clause 0x2
	global_store_b32 v4, v5, s[8:9] scale_offset
	global_store_b32 v4, v7, s[10:11] scale_offset
	;; [unrolled: 1-line block ×3, first 2 shown]
	s_wait_xcnt 0x0
	v_mul_f32_e32 v4, v31, v24
	global_store_b32 v[12:13], v2, off
	global_store_b32 v[8:9], v3, off
	s_wait_loadcnt 0x0
	s_wait_xcnt 0x1
	v_dual_fma_f32 v2, -v18, v25, v15 :: v_dual_fma_f32 v5, -v23, v25, v17
	s_wait_xcnt 0x0
	v_fma_f32 v3, -v25, v4, v19
	global_store_b32 v[10:11], v5, off
	s_clause 0x1
	global_store_b32 v1, v16, s[6:7] scale_offset
	global_store_b32 v1, v20, s[16:17] scale_offset
	s_clause 0x1
	global_store_b32 v14, v2, s[4:5] scale_offset
	global_store_b32 v14, v3, s[16:17] scale_offset
.LBB1_10:
	s_wait_xcnt 0x0
	s_or_b32 exec_lo, exec_lo, s15
.LBB1_11:
	s_cmp_lt_i32 s12, 1
	s_cbranch_scc1 .LBB1_24
; %bb.12:
	s_wait_xcnt 0x0
	s_load_b64 s[0:1], s[0:1], 0x38
	s_add_co_i32 s2, s12, 3
	s_add_co_i32 s15, s12, 2
	v_mad_u32 v3, s14, s2, v0
	v_mad_u32 v4, s14, s15, v0
	s_add_co_i32 s2, s12, 1
	s_add_co_i32 s15, s12, -1
	v_mad_u32 v2, s14, s12, v0
	v_mad_u32 v5, s14, s2, v0
	;; [unrolled: 1-line block ×4, first 2 shown]
	s_mov_b32 s2, s12
	s_branch .LBB1_14
.LBB1_13:                               ;   in Loop: Header=BB1_14 Depth=1
	s_wait_kmcnt 0x0
	v_lshl_add_u64 v[0:1], v[0:1], 2, s[16:17]
	v_subrev_nc_u32_e32 v2, s14, v2
	v_subrev_nc_u32_e32 v3, s14, v3
	;; [unrolled: 1-line block ×4, first 2 shown]
	global_load_b32 v10, v[0:1], off
	global_load_b32 v11, v8, s[8:9] scale_offset
	v_subrev_nc_u32_e32 v6, s14, v6
	v_subrev_nc_u32_e32 v7, s13, v7
	s_add_co_i32 s15, s2, -1
	s_cmp_gt_u32 s2, 1
	s_mov_b32 s2, s15
	s_wait_loadcnt 0x1
	s_wait_xcnt 0x1
	v_sub_f32_e32 v0, v10, v9
	s_wait_loadcnt 0x0
	s_delay_alu instid0(VALU_DEP_1) | instskip(NEXT) | instid1(VALU_DEP_1)
	v_div_scale_f32 v1, null, v11, v11, v0
	v_rcp_f32_e32 v9, v1
	v_nop
	s_delay_alu instid0(TRANS32_DEP_1) | instskip(NEXT) | instid1(VALU_DEP_1)
	v_fma_f32 v10, -v1, v9, 1.0
	v_fmac_f32_e32 v9, v10, v9
	v_div_scale_f32 v12, vcc_lo, v0, v11, v0
	s_delay_alu instid0(VALU_DEP_1) | instskip(NEXT) | instid1(VALU_DEP_1)
	v_mul_f32_e32 v10, v12, v9
	v_fma_f32 v13, -v1, v10, v12
	s_delay_alu instid0(VALU_DEP_1) | instskip(NEXT) | instid1(VALU_DEP_1)
	v_fmac_f32_e32 v10, v13, v9
	v_fma_f32 v1, -v1, v10, v12
	s_delay_alu instid0(VALU_DEP_1) | instskip(NEXT) | instid1(VALU_DEP_1)
	v_div_fmas_f32 v1, v1, v9, v10
	v_div_fixup_f32 v0, v1, v11, v0
	global_store_b32 v8, v0, s[0:1] scale_offset
	s_cbranch_scc0 .LBB1_24
.LBB1_14:                               ; =>This Inner Loop Header: Depth=1
	s_wait_xcnt 0x0
	s_delay_alu instid0(VALU_DEP_2)
	v_dual_mov_b32 v9, 0 :: v_dual_add_nc_u32 v8, s3, v6
	s_cmp_ge_i32 s2, s12
	s_cbranch_scc1 .LBB1_16
; %bb.15:                               ;   in Loop: Header=BB1_14 Depth=1
	v_add_nc_u32_e32 v0, s3, v2
	s_wait_kmcnt 0x0
	global_load_b32 v1, v8, s[10:11] scale_offset
	global_load_b32 v9, v0, s[0:1] scale_offset
	s_wait_loadcnt 0x0
	v_fma_f32 v9, v1, v9, 0
.LBB1_16:                               ;   in Loop: Header=BB1_14 Depth=1
	s_add_co_i32 s15, s2, 1
	s_delay_alu instid0(SALU_CYCLE_1)
	s_cmp_ge_i32 s15, s12
	s_cbranch_scc1 .LBB1_18
; %bb.17:                               ;   in Loop: Header=BB1_14 Depth=1
	s_wait_xcnt 0x0
	v_add_nc_u32_e32 v0, s3, v5
	s_wait_kmcnt 0x0
	global_load_b32 v1, v8, s[18:19] scale_offset
	global_load_b32 v10, v0, s[0:1] scale_offset
	s_wait_loadcnt 0x0
	v_fmac_f32_e32 v9, v1, v10
.LBB1_18:                               ;   in Loop: Header=BB1_14 Depth=1
	s_wait_xcnt 0x0
	v_add_nc_u32_e32 v0, s3, v7
	s_add_co_i32 s15, s15, 1
	s_mov_b32 s20, -1
	s_cmp_lt_i32 s15, s12
	s_cbranch_scc0 .LBB1_21
; %bb.19:                               ;   in Loop: Header=BB1_14 Depth=1
	s_and_not1_b32 vcc_lo, exec_lo, s20
	s_cbranch_vccz .LBB1_22
.LBB1_20:                               ;   in Loop: Header=BB1_14 Depth=1
	s_add_co_i32 s15, s15, 1
	s_delay_alu instid0(SALU_CYCLE_1)
	s_cmp_ge_i32 s15, s12
	s_cbranch_scc1 .LBB1_13
	s_branch .LBB1_23
.LBB1_21:                               ;   in Loop: Header=BB1_14 Depth=1
	v_ashrrev_i32_e32 v1, 31, v0
	s_cbranch_execnz .LBB1_20
.LBB1_22:                               ;   in Loop: Header=BB1_14 Depth=1
	v_add_nc_u32_e32 v1, s3, v4
	s_wait_kmcnt 0x0
	global_load_b32 v10, v0, s[4:5] scale_offset
	global_load_b32 v11, v1, s[0:1] scale_offset
	s_wait_loadcnt 0x0
	v_dual_ashrrev_i32 v1, 31, v0 :: v_dual_fmac_f32 v9, v10, v11
	s_add_co_i32 s15, s15, 1
	s_delay_alu instid0(SALU_CYCLE_1)
	s_cmp_ge_i32 s15, s12
	s_cbranch_scc1 .LBB1_13
.LBB1_23:                               ;   in Loop: Header=BB1_14 Depth=1
	s_wait_kmcnt 0x0
	v_lshl_add_u64 v[10:11], v[0:1], 2, s[6:7]
	v_add_nc_u32_e32 v12, s3, v3
	global_load_b32 v13, v[10:11], off
	global_load_b32 v14, v12, s[0:1] scale_offset
	s_wait_loadcnt 0x0
	v_fmac_f32_e32 v9, v13, v14
	s_branch .LBB1_13
.LBB1_24:
	s_endpgm
	.section	.rodata,"a",@progbits
	.p2align	6, 0x0
	.amdhsa_kernel _ZN9rocsparseL44gpsv_interleaved_batch_householder_qr_kernelILj256EfEEviiiPT0_S2_S2_S2_S2_S2_S2_S2_S2_
		.amdhsa_group_segment_fixed_size 0
		.amdhsa_private_segment_fixed_size 0
		.amdhsa_kernarg_size 344
		.amdhsa_user_sgpr_count 2
		.amdhsa_user_sgpr_dispatch_ptr 0
		.amdhsa_user_sgpr_queue_ptr 0
		.amdhsa_user_sgpr_kernarg_segment_ptr 1
		.amdhsa_user_sgpr_dispatch_id 0
		.amdhsa_user_sgpr_kernarg_preload_length 0
		.amdhsa_user_sgpr_kernarg_preload_offset 0
		.amdhsa_user_sgpr_private_segment_size 0
		.amdhsa_wavefront_size32 1
		.amdhsa_uses_dynamic_stack 0
		.amdhsa_enable_private_segment 0
		.amdhsa_system_sgpr_workgroup_id_x 1
		.amdhsa_system_sgpr_workgroup_id_y 0
		.amdhsa_system_sgpr_workgroup_id_z 0
		.amdhsa_system_sgpr_workgroup_info 0
		.amdhsa_system_vgpr_workitem_id 0
		.amdhsa_next_free_vgpr 62
		.amdhsa_next_free_sgpr 26
		.amdhsa_named_barrier_count 0
		.amdhsa_reserve_vcc 1
		.amdhsa_float_round_mode_32 0
		.amdhsa_float_round_mode_16_64 0
		.amdhsa_float_denorm_mode_32 3
		.amdhsa_float_denorm_mode_16_64 3
		.amdhsa_fp16_overflow 0
		.amdhsa_memory_ordered 1
		.amdhsa_forward_progress 1
		.amdhsa_inst_pref_size 28
		.amdhsa_round_robin_scheduling 0
		.amdhsa_exception_fp_ieee_invalid_op 0
		.amdhsa_exception_fp_denorm_src 0
		.amdhsa_exception_fp_ieee_div_zero 0
		.amdhsa_exception_fp_ieee_overflow 0
		.amdhsa_exception_fp_ieee_underflow 0
		.amdhsa_exception_fp_ieee_inexact 0
		.amdhsa_exception_int_div_zero 0
	.end_amdhsa_kernel
	.section	.text._ZN9rocsparseL44gpsv_interleaved_batch_householder_qr_kernelILj256EfEEviiiPT0_S2_S2_S2_S2_S2_S2_S2_S2_,"axG",@progbits,_ZN9rocsparseL44gpsv_interleaved_batch_householder_qr_kernelILj256EfEEviiiPT0_S2_S2_S2_S2_S2_S2_S2_S2_,comdat
.Lfunc_end1:
	.size	_ZN9rocsparseL44gpsv_interleaved_batch_householder_qr_kernelILj256EfEEviiiPT0_S2_S2_S2_S2_S2_S2_S2_S2_, .Lfunc_end1-_ZN9rocsparseL44gpsv_interleaved_batch_householder_qr_kernelILj256EfEEviiiPT0_S2_S2_S2_S2_S2_S2_S2_S2_
                                        ; -- End function
	.set _ZN9rocsparseL44gpsv_interleaved_batch_householder_qr_kernelILj256EfEEviiiPT0_S2_S2_S2_S2_S2_S2_S2_S2_.num_vgpr, 62
	.set _ZN9rocsparseL44gpsv_interleaved_batch_householder_qr_kernelILj256EfEEviiiPT0_S2_S2_S2_S2_S2_S2_S2_S2_.num_agpr, 0
	.set _ZN9rocsparseL44gpsv_interleaved_batch_householder_qr_kernelILj256EfEEviiiPT0_S2_S2_S2_S2_S2_S2_S2_S2_.numbered_sgpr, 26
	.set _ZN9rocsparseL44gpsv_interleaved_batch_householder_qr_kernelILj256EfEEviiiPT0_S2_S2_S2_S2_S2_S2_S2_S2_.num_named_barrier, 0
	.set _ZN9rocsparseL44gpsv_interleaved_batch_householder_qr_kernelILj256EfEEviiiPT0_S2_S2_S2_S2_S2_S2_S2_S2_.private_seg_size, 0
	.set _ZN9rocsparseL44gpsv_interleaved_batch_householder_qr_kernelILj256EfEEviiiPT0_S2_S2_S2_S2_S2_S2_S2_S2_.uses_vcc, 1
	.set _ZN9rocsparseL44gpsv_interleaved_batch_householder_qr_kernelILj256EfEEviiiPT0_S2_S2_S2_S2_S2_S2_S2_S2_.uses_flat_scratch, 0
	.set _ZN9rocsparseL44gpsv_interleaved_batch_householder_qr_kernelILj256EfEEviiiPT0_S2_S2_S2_S2_S2_S2_S2_S2_.has_dyn_sized_stack, 0
	.set _ZN9rocsparseL44gpsv_interleaved_batch_householder_qr_kernelILj256EfEEviiiPT0_S2_S2_S2_S2_S2_S2_S2_S2_.has_recursion, 0
	.set _ZN9rocsparseL44gpsv_interleaved_batch_householder_qr_kernelILj256EfEEviiiPT0_S2_S2_S2_S2_S2_S2_S2_S2_.has_indirect_call, 0
	.section	.AMDGPU.csdata,"",@progbits
; Kernel info:
; codeLenInByte = 3524
; TotalNumSgprs: 28
; NumVgprs: 62
; ScratchSize: 0
; MemoryBound: 0
; FloatMode: 240
; IeeeMode: 1
; LDSByteSize: 0 bytes/workgroup (compile time only)
; SGPRBlocks: 0
; VGPRBlocks: 3
; NumSGPRsForWavesPerEU: 28
; NumVGPRsForWavesPerEU: 62
; NamedBarCnt: 0
; Occupancy: 16
; WaveLimiterHint : 0
; COMPUTE_PGM_RSRC2:SCRATCH_EN: 0
; COMPUTE_PGM_RSRC2:USER_SGPR: 2
; COMPUTE_PGM_RSRC2:TRAP_HANDLER: 0
; COMPUTE_PGM_RSRC2:TGID_X_EN: 1
; COMPUTE_PGM_RSRC2:TGID_Y_EN: 0
; COMPUTE_PGM_RSRC2:TGID_Z_EN: 0
; COMPUTE_PGM_RSRC2:TIDIG_COMP_CNT: 0
	.section	.text._ZN9rocsparseL39gpsv_interleaved_batch_givens_qr_kernelILj128EfEEviiiPT0_S2_S2_S2_S2_S2_S2_S2_,"axG",@progbits,_ZN9rocsparseL39gpsv_interleaved_batch_givens_qr_kernelILj128EfEEviiiPT0_S2_S2_S2_S2_S2_S2_S2_,comdat
	.globl	_ZN9rocsparseL39gpsv_interleaved_batch_givens_qr_kernelILj128EfEEviiiPT0_S2_S2_S2_S2_S2_S2_S2_ ; -- Begin function _ZN9rocsparseL39gpsv_interleaved_batch_givens_qr_kernelILj128EfEEviiiPT0_S2_S2_S2_S2_S2_S2_S2_
	.p2align	8
	.type	_ZN9rocsparseL39gpsv_interleaved_batch_givens_qr_kernelILj128EfEEviiiPT0_S2_S2_S2_S2_S2_S2_S2_,@function
_ZN9rocsparseL39gpsv_interleaved_batch_givens_qr_kernelILj128EfEEviiiPT0_S2_S2_S2_S2_S2_S2_S2_: ; @_ZN9rocsparseL39gpsv_interleaved_batch_givens_qr_kernelILj128EfEEviiiPT0_S2_S2_S2_S2_S2_S2_S2_
; %bb.0:
	s_load_b96 s[16:18], s[0:1], 0x0
	s_bfe_u32 s2, ttmp6, 0x4000c
	s_and_b32 s3, ttmp6, 15
	s_add_co_i32 s2, s2, 1
	s_getreg_b32 s4, hwreg(HW_REG_IB_STS2, 6, 4)
	s_mul_i32 s2, ttmp9, s2
	s_delay_alu instid0(SALU_CYCLE_1) | instskip(SKIP_2) | instid1(SALU_CYCLE_1)
	s_add_co_i32 s3, s3, s2
	s_cmp_eq_u32 s4, 0
	s_cselect_b32 s2, ttmp9, s3
	s_lshl_b32 s19, s2, 7
	s_mov_b32 s2, exec_lo
	v_or_b32_e32 v1, s19, v0
	s_wait_kmcnt 0x0
	s_delay_alu instid0(VALU_DEP_1)
	v_cmpx_gt_i32_e64 s17, v1
	s_cbranch_execz .LBB2_7
; %bb.1:
	s_clause 0x2
	s_load_b64 s[2:3], s[0:1], 0x48
	s_load_b128 s[12:15], s[0:1], 0x38
	s_load_b256 s[4:11], s[0:1], 0x18
	s_add_co_i32 s22, s16, -2
	s_cmp_lt_i32 s16, 3
	s_cbranch_scc1 .LBB2_4
; %bb.2:
	s_load_b64 s[20:21], s[0:1], 0x10
	v_dual_mov_b32 v2, v1 :: v_dual_mov_b32 v3, v1
	s_wait_xcnt 0x0
	s_lshl_b32 s1, s18, 1
	s_mov_b32 s23, s22
.LBB2_3:                                ; =>This Inner Loop Header: Depth=1
	s_wait_xcnt 0x0
	v_dual_add_nc_u32 v4, s1, v2 :: v_dual_add_nc_u32 v5, s18, v2
	s_add_co_i32 s23, s23, -1
	s_wait_kmcnt 0x0
	global_load_b32 v6, v4, s[20:21] scale_offset
	s_clause 0x5
	global_load_b32 v7, v5, s[4:5] scale_offset
	global_load_b32 v8, v4, s[4:5] scale_offset
	;; [unrolled: 1-line block ×6, first 2 shown]
	s_clause 0x3
	global_load_b32 v13, v5, s[8:9] scale_offset
	global_load_b32 v14, v5, s[2:3] scale_offset
	global_load_b32 v15, v5, s[6:7] scale_offset
	global_load_b32 v16, v5, s[10:11] scale_offset
	s_cmp_eq_u32 s23, 0
	s_wait_loadcnt 0xa
	v_mul_f32_e32 v17, v6, v6
	s_wait_loadcnt 0x9
	s_delay_alu instid0(VALU_DEP_1) | instskip(NEXT) | instid1(VALU_DEP_1)
	v_fmac_f32_e32 v17, v7, v7
	v_mul_f32_e32 v18, 0x4f800000, v17
	v_cmp_gt_f32_e32 vcc_lo, 0xf800000, v17
	s_delay_alu instid0(VALU_DEP_2) | instskip(NEXT) | instid1(VALU_DEP_1)
	v_cndmask_b32_e32 v17, v17, v18, vcc_lo
	v_sqrt_f32_e32 v18, v17
	v_nop
	s_delay_alu instid0(TRANS32_DEP_1) | instskip(NEXT) | instid1(VALU_DEP_1)
	v_dual_add_nc_u32 v19, -1, v18 :: v_dual_add_nc_u32 v20, 1, v18
	v_dual_fma_f32 v21, -v19, v18, v17 :: v_dual_fma_f32 v22, -v20, v18, v17
	s_delay_alu instid0(VALU_DEP_1) | instskip(NEXT) | instid1(VALU_DEP_1)
	v_cmp_ge_f32_e64 s0, 0, v21
	v_cndmask_b32_e64 v18, v18, v19, s0
	s_delay_alu instid0(VALU_DEP_3) | instskip(NEXT) | instid1(VALU_DEP_1)
	v_cmp_lt_f32_e64 s0, 0, v22
	v_cndmask_b32_e64 v18, v18, v20, s0
	s_delay_alu instid0(VALU_DEP_1) | instskip(NEXT) | instid1(VALU_DEP_1)
	v_mul_f32_e32 v19, 0x37800000, v18
	v_cndmask_b32_e32 v18, v18, v19, vcc_lo
	v_cmp_class_f32_e64 vcc_lo, v17, 0x260
	s_delay_alu instid0(VALU_DEP_2) | instskip(NEXT) | instid1(VALU_DEP_1)
	v_cndmask_b32_e32 v17, v18, v17, vcc_lo
	v_div_scale_f32 v18, null, v17, v17, v7
	v_div_scale_f32 v19, null, v17, v17, v6
	v_div_scale_f32 v24, vcc_lo, v7, v17, v7
	s_delay_alu instid0(VALU_DEP_3) | instskip(NEXT) | instid1(VALU_DEP_2)
	v_rcp_f32_e32 v20, v18
	v_rcp_f32_e32 v21, v19
	s_delay_alu instid0(TRANS32_DEP_2) | instskip(NEXT) | instid1(TRANS32_DEP_1)
	v_fma_f32 v22, -v18, v20, 1.0
	v_fma_f32 v23, -v19, v21, 1.0
	s_delay_alu instid0(VALU_DEP_1) | instskip(NEXT) | instid1(VALU_DEP_1)
	v_dual_fmac_f32 v20, v22, v20 :: v_dual_fmac_f32 v21, v23, v21
	v_mul_f32_e32 v23, v24, v20
	s_delay_alu instid0(VALU_DEP_1) | instskip(SKIP_1) | instid1(VALU_DEP_2)
	v_fma_f32 v26, -v18, v23, v24
	v_div_scale_f32 v22, s0, v6, v17, v6
	v_fmac_f32_e32 v23, v26, v20
	s_delay_alu instid0(VALU_DEP_2) | instskip(NEXT) | instid1(VALU_DEP_1)
	v_mul_f32_e32 v25, v22, v21
	v_dual_fma_f32 v18, -v18, v23, v24 :: v_dual_fma_f32 v27, -v19, v25, v22
	s_delay_alu instid0(VALU_DEP_1) | instskip(NEXT) | instid1(VALU_DEP_2)
	v_div_fmas_f32 v18, v18, v20, v23
	v_fmac_f32_e32 v25, v27, v21
	s_mov_b32 vcc_lo, s0
	s_delay_alu instid0(VALU_DEP_1) | instskip(NEXT) | instid1(VALU_DEP_1)
	v_fma_f32 v19, -v19, v25, v22
	v_div_fmas_f32 v19, v19, v21, v25
	s_delay_alu instid0(VALU_DEP_1) | instskip(SKIP_2) | instid1(VALU_DEP_1)
	v_div_fixup_f32 v19, v19, v17, v6
	v_div_fixup_f32 v17, v18, v17, v7
	s_wait_loadcnt 0x4
	v_dual_mul_f32 v18, v19, v12 :: v_dual_mul_f32 v12, v17, v12
	v_dual_mul_f32 v20, v8, v19 :: v_dual_mul_f32 v21, v19, v10
	v_mul_f32_e32 v6, v6, v19
	s_wait_loadcnt 0x2
	s_delay_alu instid0(VALU_DEP_3)
	v_dual_fmac_f32 v18, v14, v17 :: v_dual_fma_f32 v12, -v14, v19, v12
	v_mul_f32_e32 v14, v9, v17
	s_clause 0x1
	global_store_b32 v5, v18, s[2:3] scale_offset
	global_store_b32 v4, v12, s[2:3] scale_offset
	s_wait_xcnt 0x1
	v_dual_mul_f32 v18, v17, v11 :: v_dual_mul_f32 v10, v17, v10
	s_wait_loadcnt 0x0
	v_dual_fmac_f32 v20, v15, v17 :: v_dual_fmac_f32 v21, v16, v17
	v_mul_f32_e32 v9, v9, v19
	global_load_b32 v12, v5, s[2:3] scale_offset
	v_fma_f32 v10, -v16, v19, v10
	v_fma_f32 v14, -v13, v19, v14
	v_dual_add_nc_u32 v22, s17, v3 :: v_dual_fmac_f32 v6, v7, v17
	v_fmac_f32_e32 v9, v13, v17
	s_clause 0x1
	global_store_b32 v5, v20, s[6:7] scale_offset
	global_store_b32 v5, v21, s[10:11] scale_offset
	s_clause 0x1
	global_store_b32 v4, v14, s[6:7] scale_offset
	global_load_b32 v14, v2, s[6:7] scale_offset
	v_dual_mul_f32 v11, v19, v11 :: v_dual_mul_f32 v7, v6, v6
	s_clause 0x1
	global_store_b32 v5, v9, s[8:9] scale_offset
	global_store_b32 v4, v10, s[8:9] scale_offset
	;; [unrolled: 1-line block ×4, first 2 shown]
	s_clause 0x1
	global_load_b32 v10, v2, s[8:9] scale_offset
	global_load_b32 v13, v2, s[10:11] scale_offset
	;; [unrolled: 1-line block ×4, first 2 shown]
	global_store_b32 v5, v6, s[4:5] scale_offset
	v_mul_f32_e32 v8, v8, v17
	s_delay_alu instid0(VALU_DEP_1) | instskip(SKIP_3) | instid1(VALU_DEP_1)
	v_fma_f32 v8, -v15, v19, v8
	global_store_b32 v4, v8, s[4:5] scale_offset
	s_wait_loadcnt 0x4
	v_fmac_f32_e32 v7, v14, v14
	v_mul_f32_e32 v23, 0x4f800000, v7
	v_cmp_gt_f32_e32 vcc_lo, 0xf800000, v7
	s_delay_alu instid0(VALU_DEP_2) | instskip(NEXT) | instid1(VALU_DEP_1)
	v_cndmask_b32_e32 v7, v7, v23, vcc_lo
	v_sqrt_f32_e32 v23, v7
	v_nop
	s_delay_alu instid0(TRANS32_DEP_1) | instskip(NEXT) | instid1(VALU_DEP_1)
	v_dual_add_nc_u32 v24, -1, v23 :: v_dual_add_nc_u32 v25, 1, v23
	v_dual_fma_f32 v26, -v24, v23, v7 :: v_dual_fma_f32 v27, -v25, v23, v7
	s_delay_alu instid0(VALU_DEP_1) | instskip(NEXT) | instid1(VALU_DEP_1)
	v_cmp_ge_f32_e64 s0, 0, v26
	v_cndmask_b32_e64 v23, v23, v24, s0
	s_delay_alu instid0(VALU_DEP_3) | instskip(NEXT) | instid1(VALU_DEP_1)
	v_cmp_lt_f32_e64 s0, 0, v27
	v_cndmask_b32_e64 v23, v23, v25, s0
	s_delay_alu instid0(VALU_DEP_1) | instskip(NEXT) | instid1(VALU_DEP_1)
	v_mul_f32_e32 v24, 0x37800000, v23
	v_cndmask_b32_e32 v23, v23, v24, vcc_lo
	v_cmp_class_f32_e64 vcc_lo, v7, 0x260
	s_delay_alu instid0(VALU_DEP_2) | instskip(NEXT) | instid1(VALU_DEP_1)
	v_cndmask_b32_e32 v7, v23, v7, vcc_lo
	v_div_scale_f32 v23, null, v7, v7, v14
	v_div_scale_f32 v24, null, v7, v7, v6
	v_div_scale_f32 v29, vcc_lo, v14, v7, v14
	s_delay_alu instid0(VALU_DEP_3) | instskip(NEXT) | instid1(VALU_DEP_2)
	v_rcp_f32_e32 v25, v23
	v_rcp_f32_e32 v26, v24
	s_delay_alu instid0(TRANS32_DEP_2) | instskip(NEXT) | instid1(TRANS32_DEP_1)
	v_fma_f32 v27, -v23, v25, 1.0
	v_fma_f32 v28, -v24, v26, 1.0
	s_delay_alu instid0(VALU_DEP_1) | instskip(NEXT) | instid1(VALU_DEP_1)
	v_dual_fmac_f32 v25, v27, v25 :: v_dual_fmac_f32 v26, v28, v26
	v_mul_f32_e32 v28, v29, v25
	s_delay_alu instid0(VALU_DEP_1) | instskip(SKIP_1) | instid1(VALU_DEP_1)
	v_fma_f32 v31, -v23, v28, v29
	v_div_scale_f32 v27, s0, v6, v7, v6
	v_mul_f32_e32 v30, v27, v26
	s_delay_alu instid0(VALU_DEP_1) | instskip(NEXT) | instid1(VALU_DEP_1)
	v_dual_fma_f32 v32, -v24, v30, v27 :: v_dual_fmac_f32 v28, v31, v25
	v_dual_fmac_f32 v30, v32, v26 :: v_dual_fma_f32 v23, -v23, v28, v29
	s_delay_alu instid0(VALU_DEP_1) | instskip(NEXT) | instid1(VALU_DEP_2)
	v_fma_f32 v17, -v24, v30, v27
	v_div_fmas_f32 v23, v23, v25, v28
	s_mov_b32 vcc_lo, s0
	s_delay_alu instid0(VALU_DEP_2) | instskip(NEXT) | instid1(VALU_DEP_2)
	v_div_fmas_f32 v15, v17, v26, v30
	v_div_fixup_f32 v17, v23, v7, v14
	s_wait_xcnt 0x0
	s_delay_alu instid0(VALU_DEP_2) | instskip(NEXT) | instid1(VALU_DEP_2)
	v_div_fixup_f32 v4, v15, v7, v6
	v_dual_mul_f32 v15, v21, v17 :: v_dual_mul_f32 v7, v20, v17
	v_dual_mul_f32 v8, v9, v17 :: v_dual_mul_f32 v19, v11, v17
	s_delay_alu instid0(VALU_DEP_3)
	v_dual_mul_f32 v21, v21, v4 :: v_dual_mul_f32 v11, v11, v4
	v_dual_mul_f32 v6, v6, v4 :: v_dual_mul_f32 v20, v20, v4
	v_mul_f32_e32 v9, v9, v4
	v_dual_mul_f32 v23, v17, v12 :: v_dual_mul_f32 v12, v4, v12
	s_wait_loadcnt 0x1
	v_dual_fma_f32 v15, -v16, v4, v15 :: v_dual_fmac_f32 v21, v16, v17
	v_fmac_f32_e32 v6, v14, v17
	v_dual_fmac_f32 v20, v10, v17 :: v_dual_fma_f32 v7, -v10, v4, v7
	s_wait_loadcnt 0x0
	v_dual_fma_f32 v8, -v13, v4, v8 :: v_dual_fma_f32 v4, -v18, v4, v23
	v_dual_fmac_f32 v9, v13, v17 :: v_dual_fmac_f32 v12, v18, v17
	s_clause 0x1
	global_store_b32 v3, v21, s[12:13] scale_offset
	global_store_b32 v22, v19, s[12:13] scale_offset
	;; [unrolled: 1-line block ×3, first 2 shown]
	s_clause 0x3
	global_store_b32 v2, v6, s[6:7] scale_offset
	global_store_b32 v2, v20, s[8:9] scale_offset
	;; [unrolled: 1-line block ×4, first 2 shown]
	s_wait_xcnt 0x0
	v_dual_mov_b32 v2, v5 :: v_dual_mov_b32 v3, v22
	s_clause 0x3
	global_store_b32 v5, v7, s[6:7] scale_offset
	global_store_b32 v5, v8, s[8:9] scale_offset
	;; [unrolled: 1-line block ×4, first 2 shown]
	s_cbranch_scc0 .LBB2_3
.LBB2_4:
	s_wait_xcnt 0x0
	s_add_co_i32 s0, s16, -1
	s_delay_alu instid0(SALU_CYCLE_1) | instskip(NEXT) | instid1(SALU_CYCLE_1)
	s_mul_i32 s1, s18, s0
	s_sub_co_i32 s20, s1, s18
	s_delay_alu instid0(SALU_CYCLE_1)
	v_dual_add_nc_u32 v2, s1, v1 :: v_dual_add_nc_u32 v3, s20, v1
	s_wait_kmcnt 0x0
	global_load_b32 v4, v2, s[4:5] scale_offset
	s_clause 0x3
	global_load_b32 v5, v3, s[6:7] scale_offset
	global_load_b32 v6, v2, s[6:7] scale_offset
	;; [unrolled: 1-line block ×4, first 2 shown]
	s_clause 0x2
	global_load_b32 v9, v3, s[8:9] scale_offset
	global_load_b32 v10, v3, s[2:3] scale_offset
	;; [unrolled: 1-line block ×3, first 2 shown]
	s_wait_loadcnt 0x7
	v_mul_f32_e32 v12, v4, v4
	s_wait_loadcnt 0x6
	s_delay_alu instid0(VALU_DEP_1) | instskip(NEXT) | instid1(VALU_DEP_1)
	v_fmac_f32_e32 v12, v5, v5
	v_mul_f32_e32 v13, 0x4f800000, v12
	v_cmp_gt_f32_e32 vcc_lo, 0xf800000, v12
	s_delay_alu instid0(VALU_DEP_2) | instskip(NEXT) | instid1(VALU_DEP_1)
	v_cndmask_b32_e32 v12, v12, v13, vcc_lo
	v_sqrt_f32_e32 v13, v12
	v_nop
	s_delay_alu instid0(TRANS32_DEP_1) | instskip(NEXT) | instid1(VALU_DEP_1)
	v_dual_add_nc_u32 v14, -1, v13 :: v_dual_add_nc_u32 v15, 1, v13
	v_dual_fma_f32 v16, -v14, v13, v12 :: v_dual_fma_f32 v17, -v15, v13, v12
	s_delay_alu instid0(VALU_DEP_1) | instskip(NEXT) | instid1(VALU_DEP_1)
	v_cmp_ge_f32_e64 s0, 0, v16
	v_cndmask_b32_e64 v13, v13, v14, s0
	s_delay_alu instid0(VALU_DEP_3) | instskip(NEXT) | instid1(VALU_DEP_1)
	v_cmp_lt_f32_e64 s0, 0, v17
	v_cndmask_b32_e64 v13, v13, v15, s0
	s_delay_alu instid0(VALU_DEP_1) | instskip(NEXT) | instid1(VALU_DEP_1)
	v_mul_f32_e32 v14, 0x37800000, v13
	v_cndmask_b32_e32 v13, v13, v14, vcc_lo
	v_cmp_class_f32_e64 vcc_lo, v12, 0x260
	s_delay_alu instid0(VALU_DEP_2) | instskip(NEXT) | instid1(VALU_DEP_1)
	v_cndmask_b32_e32 v12, v13, v12, vcc_lo
	v_div_scale_f32 v13, null, v12, v12, v5
	v_div_scale_f32 v14, null, v12, v12, v4
	v_div_scale_f32 v19, vcc_lo, v5, v12, v5
	s_delay_alu instid0(VALU_DEP_3) | instskip(NEXT) | instid1(VALU_DEP_2)
	v_rcp_f32_e32 v15, v13
	v_rcp_f32_e32 v16, v14
	s_delay_alu instid0(TRANS32_DEP_2) | instskip(NEXT) | instid1(TRANS32_DEP_1)
	v_fma_f32 v17, -v13, v15, 1.0
	v_fma_f32 v18, -v14, v16, 1.0
	s_delay_alu instid0(VALU_DEP_1) | instskip(NEXT) | instid1(VALU_DEP_1)
	v_dual_fmac_f32 v15, v17, v15 :: v_dual_fmac_f32 v16, v18, v16
	v_mul_f32_e32 v18, v19, v15
	s_delay_alu instid0(VALU_DEP_1) | instskip(SKIP_1) | instid1(VALU_DEP_2)
	v_fma_f32 v21, -v13, v18, v19
	v_div_scale_f32 v17, s0, v4, v12, v4
	v_fmac_f32_e32 v18, v21, v15
	s_delay_alu instid0(VALU_DEP_1) | instskip(NEXT) | instid1(VALU_DEP_1)
	v_fma_f32 v13, -v13, v18, v19
	v_div_fmas_f32 v13, v13, v15, v18
	s_mov_b32 vcc_lo, s0
	s_sub_co_i32 s0, s20, s18
	s_delay_alu instid0(VALU_DEP_1) | instskip(SKIP_2) | instid1(VALU_DEP_2)
	v_div_fixup_f32 v13, v13, v12, v5
	v_mul_f32_e32 v20, v17, v16
	s_wait_loadcnt 0x3
	v_mul_f32_e32 v15, v13, v8
	s_delay_alu instid0(VALU_DEP_2) | instskip(NEXT) | instid1(VALU_DEP_1)
	v_fma_f32 v22, -v14, v20, v17
	v_fmac_f32_e32 v20, v22, v16
	s_delay_alu instid0(VALU_DEP_1) | instskip(NEXT) | instid1(VALU_DEP_1)
	v_fma_f32 v14, -v14, v20, v17
	v_div_fmas_f32 v14, v14, v16, v20
	s_delay_alu instid0(VALU_DEP_1) | instskip(SKIP_2) | instid1(VALU_DEP_1)
	v_div_fixup_f32 v12, v14, v12, v4
	v_mul_f32_e32 v14, v6, v13
	s_wait_loadcnt 0x1
	v_dual_fma_f32 v15, -v10, v12, v15 :: v_dual_fma_f32 v14, -v9, v12, v14
	v_mul_f32_e32 v4, v4, v12
	v_mul_f32_e32 v8, v12, v8
	;; [unrolled: 1-line block ×3, first 2 shown]
	s_delay_alu instid0(VALU_DEP_4) | instskip(SKIP_2) | instid1(VALU_DEP_3)
	v_div_scale_f32 v16, null, v14, v14, v15
	v_div_scale_f32 v19, vcc_lo, v15, v14, v15
	v_fmac_f32_e32 v4, v5, v13
	v_rcp_f32_e32 v17, v16
	v_dual_fmac_f32 v8, v10, v13 :: v_dual_mul_f32 v5, v7, v13
	v_dual_fmac_f32 v6, v9, v13 :: v_dual_mul_f32 v7, v7, v12
	s_delay_alu instid0(TRANS32_DEP_1) | instskip(SKIP_1) | instid1(VALU_DEP_2)
	v_fma_f32 v18, -v16, v17, 1.0
	s_wait_loadcnt 0x0
	v_dual_fma_f32 v5, -v11, v12, v5 :: v_dual_fmac_f32 v7, v11, v13
	s_delay_alu instid0(VALU_DEP_2) | instskip(NEXT) | instid1(VALU_DEP_1)
	v_fmac_f32_e32 v17, v18, v17
	v_mul_f32_e32 v18, v19, v17
	s_delay_alu instid0(VALU_DEP_1) | instskip(NEXT) | instid1(VALU_DEP_1)
	v_fma_f32 v20, -v16, v18, v19
	v_fmac_f32_e32 v18, v20, v17
	s_delay_alu instid0(VALU_DEP_1) | instskip(NEXT) | instid1(VALU_DEP_1)
	v_fma_f32 v16, -v16, v18, v19
	v_div_fmas_f32 v16, v16, v17, v18
	s_delay_alu instid0(VALU_DEP_1)
	v_div_fixup_f32 v10, v16, v14, v15
	s_clause 0x1
	global_store_b32 v3, v4, s[6:7] scale_offset
	global_store_b32 v3, v8, s[2:3] scale_offset
	s_clause 0x1
	global_store_b32 v2, v14, s[6:7] scale_offset
	global_store_b32 v2, v10, s[2:3] scale_offset
	s_clause 0x4
	global_load_b32 v4, v3, s[6:7] scale_offset
	global_load_b32 v8, v3, s[2:3] scale_offset
	global_store_b32 v3, v6, s[8:9] scale_offset
	global_store_b32 v2, v5, s[8:9] scale_offset
	global_load_b32 v5, v3, s[8:9] scale_offset
	v_mad_u32 v6, s17, s22, v1
	global_load_b32 v9, v2, s[10:11] scale_offset
	global_load_b32 v14, v6, s[12:13] scale_offset
	s_wait_loadcnt 0x2
	v_fma_f32 v5, -v10, v5, v8
	s_delay_alu instid0(VALU_DEP_1) | instskip(NEXT) | instid1(VALU_DEP_1)
	v_div_scale_f32 v8, null, v4, v4, v5
	v_rcp_f32_e32 v10, v8
	v_nop
	s_delay_alu instid0(TRANS32_DEP_1) | instskip(NEXT) | instid1(VALU_DEP_1)
	v_fma_f32 v15, -v8, v10, 1.0
	v_fmac_f32_e32 v10, v15, v10
	v_div_scale_f32 v16, vcc_lo, v5, v4, v5
	s_delay_alu instid0(VALU_DEP_1) | instskip(NEXT) | instid1(VALU_DEP_1)
	v_mul_f32_e32 v15, v16, v10
	v_fma_f32 v17, -v8, v15, v16
	s_delay_alu instid0(VALU_DEP_1) | instskip(NEXT) | instid1(VALU_DEP_1)
	v_fmac_f32_e32 v15, v17, v10
	v_fma_f32 v8, -v8, v15, v16
	s_delay_alu instid0(VALU_DEP_1) | instskip(SKIP_2) | instid1(VALU_DEP_2)
	v_div_fmas_f32 v8, v8, v10, v15
	s_wait_loadcnt 0x1
	v_mul_f32_e32 v10, v13, v9
	v_div_fixup_f32 v4, v8, v4, v5
	s_wait_loadcnt 0x0
	s_delay_alu instid0(VALU_DEP_2)
	v_dual_add_nc_u32 v5, s17, v6 :: v_dual_fma_f32 v10, -v14, v12, v10
	s_clause 0x1
	global_store_b32 v3, v4, s[2:3] scale_offset
	global_load_b32 v8, v2, s[2:3] scale_offset
	v_add_nc_u32_e32 v15, s0, v1
	global_load_b32 v16, v5, s[12:13] scale_offset
	s_clause 0x1
	global_load_b32 v11, v15, s[2:3] scale_offset
	global_load_b32 v17, v15, s[8:9] scale_offset
	s_clause 0x3
	global_store_b32 v3, v7, s[10:11] scale_offset
	global_store_b32 v2, v10, s[10:11] scale_offset
	global_load_b32 v7, v15, s[10:11] scale_offset
	global_load_b32 v10, v15, s[6:7] scale_offset
	s_sub_co_i32 s0, s0, s18
	s_cmp_lt_i32 s16, 5
	v_add_nc_u32_e32 v1, s0, v1
	s_wait_loadcnt 0x2
	v_fma_f32 v4, -v4, v17, v11
	s_wait_loadcnt 0x1
	s_delay_alu instid0(VALU_DEP_1) | instskip(SKIP_1) | instid1(VALU_DEP_1)
	v_fma_f32 v4, -v7, v8, v4
	s_wait_loadcnt 0x0
	v_div_scale_f32 v7, null, v10, v10, v4
	v_div_scale_f32 v17, vcc_lo, v4, v10, v4
	s_delay_alu instid0(VALU_DEP_2) | instskip(SKIP_1) | instid1(TRANS32_DEP_1)
	v_rcp_f32_e32 v8, v7
	v_nop
	v_fma_f32 v11, -v7, v8, 1.0
	s_delay_alu instid0(VALU_DEP_1) | instskip(NEXT) | instid1(VALU_DEP_1)
	v_fmac_f32_e32 v8, v11, v8
	v_mul_f32_e32 v11, v17, v8
	s_delay_alu instid0(VALU_DEP_1) | instskip(NEXT) | instid1(VALU_DEP_1)
	v_fma_f32 v18, -v7, v11, v17
	v_fmac_f32_e32 v11, v18, v8
	s_delay_alu instid0(VALU_DEP_1) | instskip(NEXT) | instid1(VALU_DEP_1)
	v_fma_f32 v7, -v7, v11, v17
	v_div_fmas_f32 v7, v7, v8, v11
	v_dual_mul_f32 v8, v12, v9 :: v_dual_mul_f32 v11, v13, v16
	s_delay_alu instid0(VALU_DEP_2) | instskip(SKIP_1) | instid1(VALU_DEP_3)
	v_div_fixup_f32 v4, v7, v10, v4
	v_mad_u32 v7, s17, -3, v5
	v_fmac_f32_e32 v8, v14, v13
	s_clause 0x3
	global_store_b32 v15, v4, s[2:3] scale_offset
	global_load_b32 v9, v1, s[2:3] scale_offset
	global_load_b32 v10, v1, s[8:9] scale_offset
	;; [unrolled: 1-line block ×4, first 2 shown]
	s_wait_xcnt 0x0
	v_mul_f32_e32 v3, v12, v16
	s_clause 0x2
	global_store_b32 v6, v8, s[12:13] scale_offset
	global_store_b32 v5, v11, s[12:13] scale_offset
	global_load_b32 v5, v7, s[12:13] scale_offset
	global_load_b32 v8, v2, s[2:3] scale_offset
	;; [unrolled: 1-line block ×3, first 2 shown]
	s_wait_loadcnt 0x5
	s_wait_xcnt 0x1
	v_fma_f32 v2, -v4, v10, v9
	s_wait_loadcnt 0x3
	s_delay_alu instid0(VALU_DEP_1) | instskip(SKIP_1) | instid1(VALU_DEP_1)
	v_fma_f32 v2, -v13, v14, v2
	s_wait_loadcnt 0x1
	v_fma_f32 v2, -v5, v8, v2
	s_wait_loadcnt 0x0
	s_delay_alu instid0(VALU_DEP_1) | instskip(NEXT) | instid1(VALU_DEP_1)
	v_div_scale_f32 v4, null, v11, v11, v2
	v_rcp_f32_e32 v5, v4
	v_nop
	s_delay_alu instid0(TRANS32_DEP_1) | instskip(NEXT) | instid1(VALU_DEP_1)
	v_fma_f32 v7, -v4, v5, 1.0
	v_fmac_f32_e32 v5, v7, v5
	v_div_scale_f32 v7, vcc_lo, v2, v11, v2
	s_delay_alu instid0(VALU_DEP_1) | instskip(NEXT) | instid1(VALU_DEP_1)
	v_mul_f32_e32 v8, v7, v5
	v_fma_f32 v9, -v4, v8, v7
	s_delay_alu instid0(VALU_DEP_1) | instskip(NEXT) | instid1(VALU_DEP_1)
	v_fmac_f32_e32 v8, v9, v5
	v_fma_f32 v4, -v4, v8, v7
	s_delay_alu instid0(VALU_DEP_1) | instskip(NEXT) | instid1(VALU_DEP_1)
	v_div_fmas_f32 v4, v4, v5, v8
	v_div_fixup_f32 v2, v4, v11, v2
	global_store_b32 v6, v3, s[14:15] scale_offset
	global_store_b32 v1, v2, s[2:3] scale_offset
	s_cbranch_scc1 .LBB2_7
; %bb.5:
	s_add_co_i32 s4, s16, -5
	s_add_co_i32 s0, s16, -4
	;; [unrolled: 1-line block ×3, first 2 shown]
	s_wait_xcnt 0x0
	v_mad_u32 v1, s17, s4, v0
	v_mad_u32 v2, s18, s0, v0
	;; [unrolled: 1-line block ×5, first 2 shown]
	v_add_nc_u32_e32 v0, s1, v0
.LBB2_6:                                ; =>This Inner Loop Header: Depth=1
	s_wait_xcnt 0x0
	s_delay_alu instid0(VALU_DEP_2)
	v_dual_add_nc_u32 v14, s19, v5 :: v_dual_add_nc_u32 v10, s19, v2
	v_dual_add_nc_u32 v11, s19, v3 :: v_dual_add_nc_u32 v16, s19, v1
	v_subrev_nc_u32_e32 v1, s17, v1
	s_clause 0x2
	global_load_b32 v15, v14, s[2:3] scale_offset
	global_load_b32 v6, v14, s[8:9] scale_offset
	;; [unrolled: 1-line block ×3, first 2 shown]
	s_clause 0x1
	global_load_b32 v8, v10, s[2:3] scale_offset
	global_load_b32 v9, v11, s[2:3] scale_offset
	v_subrev_nc_u32_e32 v2, s18, v2
	v_subrev_nc_u32_e32 v3, s18, v3
	;; [unrolled: 1-line block ×3, first 2 shown]
	s_add_co_i32 s0, s0, -1
	s_delay_alu instid0(SALU_CYCLE_1) | instskip(SKIP_4) | instid1(VALU_DEP_3)
	s_cmp_lg_u32 s0, 0
	s_wait_loadcnt 0x0
	v_pk_mul_f32 v[6:7], v[6:7], v[8:9]
	v_add_nc_u32_e32 v17, s19, v4
	v_subrev_nc_u32_e32 v4, s18, v4
	v_dual_sub_f32 v6, v15, v6 :: v_dual_add_nc_u32 v18, s19, v0
	v_subrev_nc_u32_e32 v0, s18, v0
	s_delay_alu instid0(VALU_DEP_2)
	v_sub_f32_e32 v6, v6, v7
	s_clause 0x1
	global_load_b32 v10, v16, s[12:13] scale_offset
	global_load_b32 v11, v16, s[14:15] scale_offset
	s_clause 0x1
	global_load_b32 v12, v17, s[2:3] scale_offset
	global_load_b32 v13, v18, s[2:3] scale_offset
	;; [unrolled: 1-line block ×3, first 2 shown]
	s_wait_loadcnt 0x1
	v_pk_mul_f32 v[8:9], v[10:11], v[12:13]
	s_delay_alu instid0(VALU_DEP_1) | instskip(NEXT) | instid1(VALU_DEP_1)
	v_sub_f32_e32 v6, v6, v8
	v_sub_f32_e32 v6, v6, v9
	s_wait_loadcnt 0x0
	s_delay_alu instid0(VALU_DEP_1) | instskip(SKIP_1) | instid1(VALU_DEP_2)
	v_div_scale_f32 v7, null, v19, v19, v6
	v_div_scale_f32 v10, vcc_lo, v6, v19, v6
	v_rcp_f32_e32 v8, v7
	v_nop
	s_delay_alu instid0(TRANS32_DEP_1) | instskip(NEXT) | instid1(VALU_DEP_1)
	v_fma_f32 v9, -v7, v8, 1.0
	v_fmac_f32_e32 v8, v9, v8
	s_delay_alu instid0(VALU_DEP_1) | instskip(NEXT) | instid1(VALU_DEP_1)
	v_mul_f32_e32 v9, v10, v8
	v_fma_f32 v11, -v7, v9, v10
	s_delay_alu instid0(VALU_DEP_1) | instskip(NEXT) | instid1(VALU_DEP_1)
	v_fmac_f32_e32 v9, v11, v8
	v_fma_f32 v7, -v7, v9, v10
	s_delay_alu instid0(VALU_DEP_1) | instskip(NEXT) | instid1(VALU_DEP_1)
	v_div_fmas_f32 v7, v7, v8, v9
	v_div_fixup_f32 v6, v7, v19, v6
	global_store_b32 v14, v6, s[2:3] scale_offset
	s_cbranch_scc1 .LBB2_6
.LBB2_7:
	s_endpgm
	.section	.rodata,"a",@progbits
	.p2align	6, 0x0
	.amdhsa_kernel _ZN9rocsparseL39gpsv_interleaved_batch_givens_qr_kernelILj128EfEEviiiPT0_S2_S2_S2_S2_S2_S2_S2_
		.amdhsa_group_segment_fixed_size 0
		.amdhsa_private_segment_fixed_size 0
		.amdhsa_kernarg_size 80
		.amdhsa_user_sgpr_count 2
		.amdhsa_user_sgpr_dispatch_ptr 0
		.amdhsa_user_sgpr_queue_ptr 0
		.amdhsa_user_sgpr_kernarg_segment_ptr 1
		.amdhsa_user_sgpr_dispatch_id 0
		.amdhsa_user_sgpr_kernarg_preload_length 0
		.amdhsa_user_sgpr_kernarg_preload_offset 0
		.amdhsa_user_sgpr_private_segment_size 0
		.amdhsa_wavefront_size32 1
		.amdhsa_uses_dynamic_stack 0
		.amdhsa_enable_private_segment 0
		.amdhsa_system_sgpr_workgroup_id_x 1
		.amdhsa_system_sgpr_workgroup_id_y 0
		.amdhsa_system_sgpr_workgroup_id_z 0
		.amdhsa_system_sgpr_workgroup_info 0
		.amdhsa_system_vgpr_workitem_id 0
		.amdhsa_next_free_vgpr 33
		.amdhsa_next_free_sgpr 24
		.amdhsa_named_barrier_count 0
		.amdhsa_reserve_vcc 1
		.amdhsa_float_round_mode_32 0
		.amdhsa_float_round_mode_16_64 0
		.amdhsa_float_denorm_mode_32 3
		.amdhsa_float_denorm_mode_16_64 3
		.amdhsa_fp16_overflow 0
		.amdhsa_memory_ordered 1
		.amdhsa_forward_progress 1
		.amdhsa_inst_pref_size 29
		.amdhsa_round_robin_scheduling 0
		.amdhsa_exception_fp_ieee_invalid_op 0
		.amdhsa_exception_fp_denorm_src 0
		.amdhsa_exception_fp_ieee_div_zero 0
		.amdhsa_exception_fp_ieee_overflow 0
		.amdhsa_exception_fp_ieee_underflow 0
		.amdhsa_exception_fp_ieee_inexact 0
		.amdhsa_exception_int_div_zero 0
	.end_amdhsa_kernel
	.section	.text._ZN9rocsparseL39gpsv_interleaved_batch_givens_qr_kernelILj128EfEEviiiPT0_S2_S2_S2_S2_S2_S2_S2_,"axG",@progbits,_ZN9rocsparseL39gpsv_interleaved_batch_givens_qr_kernelILj128EfEEviiiPT0_S2_S2_S2_S2_S2_S2_S2_,comdat
.Lfunc_end2:
	.size	_ZN9rocsparseL39gpsv_interleaved_batch_givens_qr_kernelILj128EfEEviiiPT0_S2_S2_S2_S2_S2_S2_S2_, .Lfunc_end2-_ZN9rocsparseL39gpsv_interleaved_batch_givens_qr_kernelILj128EfEEviiiPT0_S2_S2_S2_S2_S2_S2_S2_
                                        ; -- End function
	.set _ZN9rocsparseL39gpsv_interleaved_batch_givens_qr_kernelILj128EfEEviiiPT0_S2_S2_S2_S2_S2_S2_S2_.num_vgpr, 33
	.set _ZN9rocsparseL39gpsv_interleaved_batch_givens_qr_kernelILj128EfEEviiiPT0_S2_S2_S2_S2_S2_S2_S2_.num_agpr, 0
	.set _ZN9rocsparseL39gpsv_interleaved_batch_givens_qr_kernelILj128EfEEviiiPT0_S2_S2_S2_S2_S2_S2_S2_.numbered_sgpr, 24
	.set _ZN9rocsparseL39gpsv_interleaved_batch_givens_qr_kernelILj128EfEEviiiPT0_S2_S2_S2_S2_S2_S2_S2_.num_named_barrier, 0
	.set _ZN9rocsparseL39gpsv_interleaved_batch_givens_qr_kernelILj128EfEEviiiPT0_S2_S2_S2_S2_S2_S2_S2_.private_seg_size, 0
	.set _ZN9rocsparseL39gpsv_interleaved_batch_givens_qr_kernelILj128EfEEviiiPT0_S2_S2_S2_S2_S2_S2_S2_.uses_vcc, 1
	.set _ZN9rocsparseL39gpsv_interleaved_batch_givens_qr_kernelILj128EfEEviiiPT0_S2_S2_S2_S2_S2_S2_S2_.uses_flat_scratch, 0
	.set _ZN9rocsparseL39gpsv_interleaved_batch_givens_qr_kernelILj128EfEEviiiPT0_S2_S2_S2_S2_S2_S2_S2_.has_dyn_sized_stack, 0
	.set _ZN9rocsparseL39gpsv_interleaved_batch_givens_qr_kernelILj128EfEEviiiPT0_S2_S2_S2_S2_S2_S2_S2_.has_recursion, 0
	.set _ZN9rocsparseL39gpsv_interleaved_batch_givens_qr_kernelILj128EfEEviiiPT0_S2_S2_S2_S2_S2_S2_S2_.has_indirect_call, 0
	.section	.AMDGPU.csdata,"",@progbits
; Kernel info:
; codeLenInByte = 3604
; TotalNumSgprs: 26
; NumVgprs: 33
; ScratchSize: 0
; MemoryBound: 0
; FloatMode: 240
; IeeeMode: 1
; LDSByteSize: 0 bytes/workgroup (compile time only)
; SGPRBlocks: 0
; VGPRBlocks: 2
; NumSGPRsForWavesPerEU: 26
; NumVGPRsForWavesPerEU: 33
; NamedBarCnt: 0
; Occupancy: 16
; WaveLimiterHint : 0
; COMPUTE_PGM_RSRC2:SCRATCH_EN: 0
; COMPUTE_PGM_RSRC2:USER_SGPR: 2
; COMPUTE_PGM_RSRC2:TRAP_HANDLER: 0
; COMPUTE_PGM_RSRC2:TGID_X_EN: 1
; COMPUTE_PGM_RSRC2:TGID_Y_EN: 0
; COMPUTE_PGM_RSRC2:TGID_Z_EN: 0
; COMPUTE_PGM_RSRC2:TIDIG_COMP_CNT: 0
	.section	.text._ZN9rocsparseL19gpsv_strided_gatherILj256EdEEviiiPKT0_PS1_,"axG",@progbits,_ZN9rocsparseL19gpsv_strided_gatherILj256EdEEviiiPKT0_PS1_,comdat
	.globl	_ZN9rocsparseL19gpsv_strided_gatherILj256EdEEviiiPKT0_PS1_ ; -- Begin function _ZN9rocsparseL19gpsv_strided_gatherILj256EdEEviiiPKT0_PS1_
	.p2align	8
	.type	_ZN9rocsparseL19gpsv_strided_gatherILj256EdEEviiiPKT0_PS1_,@function
_ZN9rocsparseL19gpsv_strided_gatherILj256EdEEviiiPKT0_PS1_: ; @_ZN9rocsparseL19gpsv_strided_gatherILj256EdEEviiiPKT0_PS1_
; %bb.0:
	s_clause 0x1
	s_load_b32 s2, s[0:1], 0x2c
	s_load_b96 s[4:6], s[0:1], 0x0
	s_bfe_u32 s3, ttmp6, 0x4000c
	s_and_b32 s7, ttmp6, 15
	s_add_co_i32 s3, s3, 1
	s_getreg_b32 s8, hwreg(HW_REG_IB_STS2, 6, 4)
	s_mul_i32 s3, ttmp9, s3
	s_delay_alu instid0(SALU_CYCLE_1)
	s_add_co_i32 s7, s7, s3
	s_wait_kmcnt 0x0
	s_and_b32 s2, s2, 0xffff
	s_cmp_eq_u32 s8, 0
	s_cselect_b32 s3, ttmp9, s7
	s_cmp_gt_i32 s4, 0
	v_mad_u32 v0, s3, s2, v0
	s_cselect_b32 s2, -1, 0
	s_delay_alu instid0(VALU_DEP_1) | instskip(SKIP_1) | instid1(SALU_CYCLE_1)
	v_cmp_gt_i32_e32 vcc_lo, s5, v0
	s_and_b32 s2, vcc_lo, s2
	s_and_saveexec_b32 s3, s2
	s_cbranch_execz .LBB3_3
; %bb.1:
	s_load_b128 s[0:3], s[0:1], 0x10
	v_mov_b32_e32 v1, v0
.LBB3_2:                                ; =>This Inner Loop Header: Depth=1
	s_wait_kmcnt 0x0
	global_load_b64 v[2:3], v0, s[0:1] scale_offset
	s_wait_xcnt 0x0
	v_add_nc_u32_e32 v0, s6, v0
	s_add_co_i32 s4, s4, -1
	s_delay_alu instid0(SALU_CYCLE_1)
	s_cmp_lg_u32 s4, 0
	s_wait_loadcnt 0x0
	global_store_b64 v1, v[2:3], s[2:3] scale_offset
	s_wait_xcnt 0x0
	v_add_nc_u32_e32 v1, s5, v1
	s_cbranch_scc1 .LBB3_2
.LBB3_3:
	s_endpgm
	.section	.rodata,"a",@progbits
	.p2align	6, 0x0
	.amdhsa_kernel _ZN9rocsparseL19gpsv_strided_gatherILj256EdEEviiiPKT0_PS1_
		.amdhsa_group_segment_fixed_size 0
		.amdhsa_private_segment_fixed_size 0
		.amdhsa_kernarg_size 288
		.amdhsa_user_sgpr_count 2
		.amdhsa_user_sgpr_dispatch_ptr 0
		.amdhsa_user_sgpr_queue_ptr 0
		.amdhsa_user_sgpr_kernarg_segment_ptr 1
		.amdhsa_user_sgpr_dispatch_id 0
		.amdhsa_user_sgpr_kernarg_preload_length 0
		.amdhsa_user_sgpr_kernarg_preload_offset 0
		.amdhsa_user_sgpr_private_segment_size 0
		.amdhsa_wavefront_size32 1
		.amdhsa_uses_dynamic_stack 0
		.amdhsa_enable_private_segment 0
		.amdhsa_system_sgpr_workgroup_id_x 1
		.amdhsa_system_sgpr_workgroup_id_y 0
		.amdhsa_system_sgpr_workgroup_id_z 0
		.amdhsa_system_sgpr_workgroup_info 0
		.amdhsa_system_vgpr_workitem_id 0
		.amdhsa_next_free_vgpr 4
		.amdhsa_next_free_sgpr 9
		.amdhsa_named_barrier_count 0
		.amdhsa_reserve_vcc 1
		.amdhsa_float_round_mode_32 0
		.amdhsa_float_round_mode_16_64 0
		.amdhsa_float_denorm_mode_32 3
		.amdhsa_float_denorm_mode_16_64 3
		.amdhsa_fp16_overflow 0
		.amdhsa_memory_ordered 1
		.amdhsa_forward_progress 1
		.amdhsa_inst_pref_size 2
		.amdhsa_round_robin_scheduling 0
		.amdhsa_exception_fp_ieee_invalid_op 0
		.amdhsa_exception_fp_denorm_src 0
		.amdhsa_exception_fp_ieee_div_zero 0
		.amdhsa_exception_fp_ieee_overflow 0
		.amdhsa_exception_fp_ieee_underflow 0
		.amdhsa_exception_fp_ieee_inexact 0
		.amdhsa_exception_int_div_zero 0
	.end_amdhsa_kernel
	.section	.text._ZN9rocsparseL19gpsv_strided_gatherILj256EdEEviiiPKT0_PS1_,"axG",@progbits,_ZN9rocsparseL19gpsv_strided_gatherILj256EdEEviiiPKT0_PS1_,comdat
.Lfunc_end3:
	.size	_ZN9rocsparseL19gpsv_strided_gatherILj256EdEEviiiPKT0_PS1_, .Lfunc_end3-_ZN9rocsparseL19gpsv_strided_gatherILj256EdEEviiiPKT0_PS1_
                                        ; -- End function
	.set _ZN9rocsparseL19gpsv_strided_gatherILj256EdEEviiiPKT0_PS1_.num_vgpr, 4
	.set _ZN9rocsparseL19gpsv_strided_gatherILj256EdEEviiiPKT0_PS1_.num_agpr, 0
	.set _ZN9rocsparseL19gpsv_strided_gatherILj256EdEEviiiPKT0_PS1_.numbered_sgpr, 9
	.set _ZN9rocsparseL19gpsv_strided_gatherILj256EdEEviiiPKT0_PS1_.num_named_barrier, 0
	.set _ZN9rocsparseL19gpsv_strided_gatherILj256EdEEviiiPKT0_PS1_.private_seg_size, 0
	.set _ZN9rocsparseL19gpsv_strided_gatherILj256EdEEviiiPKT0_PS1_.uses_vcc, 1
	.set _ZN9rocsparseL19gpsv_strided_gatherILj256EdEEviiiPKT0_PS1_.uses_flat_scratch, 0
	.set _ZN9rocsparseL19gpsv_strided_gatherILj256EdEEviiiPKT0_PS1_.has_dyn_sized_stack, 0
	.set _ZN9rocsparseL19gpsv_strided_gatherILj256EdEEviiiPKT0_PS1_.has_recursion, 0
	.set _ZN9rocsparseL19gpsv_strided_gatherILj256EdEEviiiPKT0_PS1_.has_indirect_call, 0
	.section	.AMDGPU.csdata,"",@progbits
; Kernel info:
; codeLenInByte = 188
; TotalNumSgprs: 11
; NumVgprs: 4
; ScratchSize: 0
; MemoryBound: 0
; FloatMode: 240
; IeeeMode: 1
; LDSByteSize: 0 bytes/workgroup (compile time only)
; SGPRBlocks: 0
; VGPRBlocks: 0
; NumSGPRsForWavesPerEU: 11
; NumVGPRsForWavesPerEU: 4
; NamedBarCnt: 0
; Occupancy: 16
; WaveLimiterHint : 0
; COMPUTE_PGM_RSRC2:SCRATCH_EN: 0
; COMPUTE_PGM_RSRC2:USER_SGPR: 2
; COMPUTE_PGM_RSRC2:TRAP_HANDLER: 0
; COMPUTE_PGM_RSRC2:TGID_X_EN: 1
; COMPUTE_PGM_RSRC2:TGID_Y_EN: 0
; COMPUTE_PGM_RSRC2:TGID_Z_EN: 0
; COMPUTE_PGM_RSRC2:TIDIG_COMP_CNT: 0
	.section	.text._ZN9rocsparseL44gpsv_interleaved_batch_householder_qr_kernelILj256EdEEviiiPT0_S2_S2_S2_S2_S2_S2_S2_S2_,"axG",@progbits,_ZN9rocsparseL44gpsv_interleaved_batch_householder_qr_kernelILj256EdEEviiiPT0_S2_S2_S2_S2_S2_S2_S2_S2_,comdat
	.globl	_ZN9rocsparseL44gpsv_interleaved_batch_householder_qr_kernelILj256EdEEviiiPT0_S2_S2_S2_S2_S2_S2_S2_S2_ ; -- Begin function _ZN9rocsparseL44gpsv_interleaved_batch_householder_qr_kernelILj256EdEEviiiPT0_S2_S2_S2_S2_S2_S2_S2_S2_
	.p2align	8
	.type	_ZN9rocsparseL44gpsv_interleaved_batch_householder_qr_kernelILj256EdEEviiiPT0_S2_S2_S2_S2_S2_S2_S2_S2_,@function
_ZN9rocsparseL44gpsv_interleaved_batch_householder_qr_kernelILj256EdEEviiiPT0_S2_S2_S2_S2_S2_S2_S2_S2_: ; @_ZN9rocsparseL44gpsv_interleaved_batch_householder_qr_kernelILj256EdEEviiiPT0_S2_S2_S2_S2_S2_S2_S2_S2_
; %bb.0:
	s_clause 0x1
	s_load_b32 s2, s[0:1], 0x64
	s_load_b96 s[12:14], s[0:1], 0x0
	s_bfe_u32 s3, ttmp6, 0x4000c
	s_and_b32 s4, ttmp6, 15
	s_add_co_i32 s3, s3, 1
	s_getreg_b32 s5, hwreg(HW_REG_IB_STS2, 6, 4)
	s_mul_i32 s3, ttmp9, s3
	s_delay_alu instid0(SALU_CYCLE_1) | instskip(SKIP_4) | instid1(SALU_CYCLE_1)
	s_add_co_i32 s4, s4, s3
	s_wait_kmcnt 0x0
	s_and_b32 s2, s2, 0xffff
	s_cmp_eq_u32 s5, 0
	s_cselect_b32 s3, ttmp9, s4
	s_mul_i32 s3, s3, s2
	s_mov_b32 s2, exec_lo
	v_add_nc_u32_e32 v1, s3, v0
	s_delay_alu instid0(VALU_DEP_1)
	v_cmpx_gt_i32_e64 s13, v1
	s_cbranch_execz .LBB4_32
; %bb.1:
	s_clause 0x3
	s_load_b64 s[16:17], s[0:1], 0x50
	s_load_b128 s[4:7], s[0:1], 0x40
	s_load_b128 s[8:11], s[0:1], 0x20
	s_load_b64 s[18:19], s[0:1], 0x30
	s_cmp_lt_i32 s12, 2
	s_cbranch_scc1 .LBB4_19
; %bb.2:
	s_load_b64 s[20:21], s[0:1], 0x18
	s_add_co_i32 s15, s12, -2
	s_mov_b32 s2, 0
	s_cmp_eq_u32 s15, 0
	s_cbranch_scc1 .LBB4_12
; %bb.3:
	s_load_b64 s[22:23], s[0:1], 0x10
	v_dual_add_nc_u32 v56, s13, v0 :: v_dual_add_nc_u32 v59, s14, v0
	v_lshl_add_u32 v57, s13, 1, v0
	v_lshl_add_u32 v58, s14, 1, v0
	v_dual_mov_b32 v60, v0 :: v_dual_mov_b32 v61, v0
	s_mov_b32 s24, 0
	s_branch .LBB4_6
.LBB4_4:                                ;   in Loop: Header=BB4_6 Depth=1
	s_or_b32 exec_lo, exec_lo, s2
	s_delay_alu instid0(VALU_DEP_1)
	v_div_scale_f64 v[54:55], null, v[52:53], v[52:53], v[34:35]
	v_div_scale_f64 v[64:65], null, v[52:53], v[52:53], v[32:33]
	v_div_scale_f64 v[72:73], vcc_lo, v[34:35], v[52:53], v[34:35]
	v_fmac_f64_e32 v[50:51], v[52:53], v[52:53]
	v_lshl_add_u64 v[4:5], v[4:5], 3, s[20:21]
	v_lshl_add_u64 v[2:3], v[2:3], 3, s[22:23]
	v_dual_ashrrev_i32 v23, 31, v22 :: v_dual_add_nc_u32 v84, s3, v61
	v_ashrrev_i32_e32 v21, 31, v20
	v_ashrrev_i32_e32 v25, 31, v24
	s_delay_alu instid0(VALU_DEP_1) | instskip(SKIP_2) | instid1(TRANS32_DEP_2)
	v_lshl_add_u64 v[24:25], v[24:25], 3, s[16:17]
	v_rcp_f64_e32 v[62:63], v[54:55]
	v_rcp_f64_e32 v[68:69], v[64:65]
	v_fma_f64 v[66:67], -v[54:55], v[62:63], 1.0
	s_delay_alu instid0(TRANS32_DEP_1) | instskip(NEXT) | instid1(VALU_DEP_2)
	v_fma_f64 v[70:71], -v[64:65], v[68:69], 1.0
	v_fmac_f64_e32 v[62:63], v[62:63], v[66:67]
	s_delay_alu instid0(VALU_DEP_2) | instskip(NEXT) | instid1(VALU_DEP_2)
	v_fmac_f64_e32 v[68:69], v[68:69], v[70:71]
	v_fma_f64 v[66:67], -v[54:55], v[62:63], 1.0
	s_delay_alu instid0(VALU_DEP_2) | instskip(NEXT) | instid1(VALU_DEP_2)
	v_fma_f64 v[74:75], -v[64:65], v[68:69], 1.0
	v_fmac_f64_e32 v[62:63], v[62:63], v[66:67]
	v_mul_f64_e32 v[66:67], v[52:53], v[52:53]
	s_delay_alu instid0(VALU_DEP_3) | instskip(SKIP_1) | instid1(VALU_DEP_4)
	v_fmac_f64_e32 v[68:69], v[68:69], v[74:75]
	v_div_scale_f64 v[74:75], s2, v[32:33], v[52:53], v[32:33]
	v_mul_f64_e32 v[70:71], v[72:73], v[62:63]
	s_delay_alu instid0(VALU_DEP_4) | instskip(NEXT) | instid1(VALU_DEP_2)
	v_add_f64_e32 v[66:67], v[66:67], v[66:67]
	v_fma_f64 v[54:55], -v[54:55], v[70:71], v[72:73]
	s_delay_alu instid0(VALU_DEP_2) | instskip(NEXT) | instid1(VALU_DEP_2)
	v_div_scale_f64 v[72:73], null, v[50:51], v[50:51], v[66:67]
	v_div_fmas_f64 v[54:55], v[54:55], v[62:63], v[70:71]
	s_delay_alu instid0(VALU_DEP_2) | instskip(SKIP_2) | instid1(VALU_DEP_2)
	v_rcp_f64_e32 v[62:63], v[72:73]
	v_mul_f64_e32 v[70:71], v[74:75], v[68:69]
	s_mov_b32 vcc_lo, s2
	v_div_fixup_f64 v[54:55], v[54:55], v[52:53], v[34:35]
	s_delay_alu instid0(VALU_DEP_2) | instskip(NEXT) | instid1(TRANS32_DEP_1)
	v_fma_f64 v[64:65], -v[64:65], v[70:71], v[74:75]
	v_fma_f64 v[74:75], -v[72:73], v[62:63], 1.0
	s_delay_alu instid0(VALU_DEP_3) | instskip(NEXT) | instid1(VALU_DEP_3)
	v_fma_f64 v[34:35], v[54:55], v[34:35], v[44:45]
	v_div_fmas_f64 v[64:65], v[64:65], v[68:69], v[70:71]
	v_div_scale_f64 v[70:71], vcc_lo, v[66:67], v[50:51], v[66:67]
	s_delay_alu instid0(VALU_DEP_4) | instskip(NEXT) | instid1(VALU_DEP_3)
	v_fmac_f64_e32 v[62:63], v[62:63], v[74:75]
	v_div_fixup_f64 v[52:53], v[64:65], v[52:53], v[32:33]
	v_fma_f64 v[64:65], v[54:55], v[54:55], 1.0
	s_delay_alu instid0(VALU_DEP_3) | instskip(NEXT) | instid1(VALU_DEP_3)
	v_fma_f64 v[68:69], -v[72:73], v[62:63], 1.0
	v_fmac_f64_e32 v[34:35], v[52:53], v[32:33]
	s_delay_alu instid0(VALU_DEP_3) | instskip(SKIP_3) | instid1(VALU_DEP_4)
	v_fmac_f64_e32 v[64:65], v[52:53], v[52:53]
	v_lshlrev_b64_e32 v[32:33], 3, v[20:21]
	v_lshl_add_u64 v[20:21], v[20:21], 3, s[8:9]
	v_fmac_f64_e32 v[62:63], v[62:63], v[68:69]
	v_div_scale_f64 v[74:75], null, v[64:65], v[64:65], 2.0
	s_delay_alu instid0(VALU_DEP_2) | instskip(NEXT) | instid1(VALU_DEP_1)
	v_mul_f64_e32 v[68:69], v[70:71], v[62:63]
	v_fma_f64 v[70:71], -v[72:73], v[68:69], v[70:71]
	s_delay_alu instid0(VALU_DEP_3) | instskip(NEXT) | instid1(VALU_DEP_1)
	v_rcp_f64_e32 v[72:73], v[74:75]
	v_div_fmas_f64 v[62:63], v[70:71], v[62:63], v[68:69]
	v_div_scale_f64 v[70:71], vcc_lo, 2.0, v[64:65], 2.0
	s_delay_alu instid0(TRANS32_DEP_1) | instskip(NEXT) | instid1(VALU_DEP_3)
	v_fma_f64 v[76:77], -v[74:75], v[72:73], 1.0
	v_div_fixup_f64 v[50:51], v[62:63], v[50:51], v[66:67]
	v_lshl_add_u64 v[62:63], v[22:23], 3, s[4:5]
	global_load_b64 v[66:67], v84, s[6:7] scale_offset
	v_lshl_add_u64 v[22:23], v[22:23], 3, s[16:17]
	v_fmac_f64_e32 v[72:73], v[72:73], v[76:77]
	v_fma_f64 v[34:35], -v[34:35], v[50:51], v[44:45]
	v_add_nc_u64_e32 v[44:45], s[10:11], v[32:33]
	v_add_nc_u64_e32 v[32:33], s[18:19], v[32:33]
	s_delay_alu instid0(VALU_DEP_4) | instskip(NEXT) | instid1(VALU_DEP_1)
	v_fma_f64 v[68:69], -v[74:75], v[72:73], 1.0
	v_fmac_f64_e32 v[72:73], v[72:73], v[68:69]
	s_delay_alu instid0(VALU_DEP_1) | instskip(NEXT) | instid1(VALU_DEP_1)
	v_mul_f64_e32 v[68:69], v[70:71], v[72:73]
	v_fma_f64 v[70:71], -v[74:75], v[68:69], v[70:71]
	s_delay_alu instid0(VALU_DEP_1)
	v_div_fmas_f64 v[68:69], v[70:71], v[72:73], v[68:69]
	s_clause 0x1
	global_load_b64 v[70:71], v[62:63], off
	global_load_b64 v[72:73], v84, s[4:5] scale_offset
	global_load_b64 v[76:77], v[44:45], off
	global_load_b64 v[80:81], v[32:33], off
	v_div_fixup_f64 v[64:65], v[68:69], v[64:65], 2.0
	global_load_b64 v[68:69], v84, s[16:17] scale_offset
	s_wait_loadcnt 0x4
	v_fma_f64 v[70:71], v[54:55], v[70:71], v[66:67]
	s_wait_loadcnt 0x3
	v_fma_f64 v[74:75], v[54:55], v[46:47], v[72:73]
	;; [unrolled: 2-line block ×4, first 2 shown]
	s_delay_alu instid0(VALU_DEP_4) | instskip(NEXT) | instid1(VALU_DEP_4)
	v_fmac_f64_e32 v[70:71], v[52:53], v[30:31]
	v_fmac_f64_e32 v[74:75], v[52:53], v[48:49]
	s_delay_alu instid0(VALU_DEP_4) | instskip(NEXT) | instid1(VALU_DEP_4)
	v_fmac_f64_e32 v[78:79], v[52:53], v[42:43]
	v_fmac_f64_e32 v[82:83], v[52:53], v[40:41]
	s_delay_alu instid0(VALU_DEP_4) | instskip(NEXT) | instid1(VALU_DEP_4)
	v_fma_f64 v[66:67], -v[50:51], v[70:71], v[66:67]
	v_fma_f64 v[72:73], -v[50:51], v[74:75], v[72:73]
	v_mul_f64_e32 v[74:75], v[50:51], v[74:75]
	v_fma_f64 v[76:77], -v[78:79], v[50:51], v[76:77]
	v_mul_f64_e32 v[78:79], v[78:79], v[50:51]
	;; [unrolled: 2-line block ×3, first 2 shown]
	v_mul_f64_e32 v[50:51], v[50:51], v[70:71]
	s_wait_loadcnt 0x0
	v_fma_f64 v[70:71], v[54:55], v[28:29], v[68:69]
	global_store_b64 v84, v[72:73], s[4:5] scale_offset
	v_fma_f64 v[46:47], -v[74:75], v[54:55], v[46:47]
	v_fma_f64 v[48:49], -v[74:75], v[52:53], v[48:49]
	;; [unrolled: 1-line block ×6, first 2 shown]
	v_fmac_f64_e32 v[70:71], v[52:53], v[26:27]
	v_fma_f64 v[40:41], -v[82:83], v[52:53], v[40:41]
	s_delay_alu instid0(VALU_DEP_2)
	v_fma_f64 v[68:69], -v[64:65], v[70:71], v[68:69]
	v_mul_f64_e32 v[64:65], v[64:65], v[70:71]
	global_load_b64 v[70:71], v[62:63], off
	v_fma_f64 v[28:29], -v[54:55], v[64:65], v[28:29]
	v_fma_f64 v[26:27], -v[52:53], v[64:65], v[26:27]
	s_wait_loadcnt 0x0
	v_fma_f64 v[50:51], -v[50:51], v[54:55], v[70:71]
	global_store_b64 v[4:5], v[54:55], off
	global_store_b64 v[2:3], v[52:53], off
	;; [unrolled: 1-line block ×3, first 2 shown]
	global_store_b64 v84, v[66:67], s[6:7] scale_offset
	global_store_b64 v[44:45], v[76:77], off
	s_clause 0x2
	global_store_b64 v[32:33], v[80:81], off
	global_store_b64 v[16:17], v[46:47], off
	;; [unrolled: 1-line block ×8, first 2 shown]
	global_store_b64 v84, v[68:69], s[16:17] scale_offset
	global_store_b64 v[62:63], v[50:51], off
	s_clause 0x1
	global_store_b64 v[22:23], v[28:29], off
	global_store_b64 v[24:25], v[26:27], off
.LBB4_5:                                ;   in Loop: Header=BB4_6 Depth=1
	s_wait_xcnt 0x0
	s_or_b32 exec_lo, exec_lo, s25
	v_dual_add_nc_u32 v56, s13, v56 :: v_dual_add_nc_u32 v57, s13, v57
	v_dual_add_nc_u32 v61, s13, v61 :: v_dual_add_nc_u32 v58, s14, v58
	;; [unrolled: 1-line block ×3, first 2 shown]
	s_add_co_i32 s24, s24, 1
	s_delay_alu instid0(SALU_CYCLE_1)
	s_cmp_eq_u32 s15, s24
	s_cbranch_scc1 .LBB4_11
.LBB4_6:                                ; =>This Inner Loop Header: Depth=1
	s_delay_alu instid0(VALU_DEP_1)
	v_dual_add_nc_u32 v2, s3, v58 :: v_dual_add_nc_u32 v4, s3, v59
	s_mov_b32 s25, exec_lo
	s_wait_kmcnt 0x0
	global_load_b64 v[32:33], v2, s[22:23] scale_offset
	global_load_b64 v[34:35], v4, s[20:21] scale_offset
	s_wait_loadcnt 0x1
	v_mul_f64_e32 v[50:51], v[32:33], v[32:33]
	s_wait_loadcnt 0x0
	s_delay_alu instid0(VALU_DEP_1) | instskip(SKIP_1) | instid1(VALU_DEP_1)
	v_fmac_f64_e32 v[50:51], v[34:35], v[34:35]
	s_wait_xcnt 0x0
	v_cmpx_neq_f64_e32 0, v[50:51]
	s_cbranch_execz .LBB4_5
; %bb.7:                                ;   in Loop: Header=BB4_6 Depth=1
	v_dual_add_nc_u32 v20, s3, v60 :: v_dual_ashrrev_i32 v3, 31, v2
	v_dual_ashrrev_i32 v5, 31, v4 :: v_dual_add_nc_u32 v24, s3, v57
	global_load_b64 v[44:45], v20, s[8:9] scale_offset
	v_lshlrev_b64_e32 v[18:19], 3, v[2:3]
	v_lshlrev_b64_e32 v[10:11], 3, v[4:5]
	s_delay_alu instid0(VALU_DEP_2) | instskip(NEXT) | instid1(VALU_DEP_2)
	v_add_nc_u64_e32 v[14:15], s[10:11], v[18:19]
	v_add_nc_u64_e32 v[6:7], s[8:9], v[10:11]
	;; [unrolled: 1-line block ×3, first 2 shown]
	s_wait_loadcnt 0x0
	v_fma_f64 v[8:9], v[44:45], v[44:45], v[50:51]
	v_cmp_nlt_f64_e64 s2, 0, v[44:45]
	s_delay_alu instid0(VALU_DEP_2) | instskip(SKIP_2) | instid1(VALU_DEP_2)
	v_cmp_gt_f64_e32 vcc_lo, 0x10000000, v[8:9]
	v_cndmask_b32_e64 v12, 0, 0x100, vcc_lo
	v_cndmask_b32_e64 v21, 0, 0xffffff80, vcc_lo
	v_ldexp_f64 v[52:53], v[8:9], v12
	v_add_nc_u64_e32 v[8:9], s[10:11], v[10:11]
	v_add_nc_u64_e32 v[10:11], s[20:21], v[18:19]
	;; [unrolled: 1-line block ×4, first 2 shown]
	v_rsq_f64_e32 v[54:55], v[52:53]
	v_add_nc_u32_e32 v22, s3, v56
	v_cmp_class_f64_e64 vcc_lo, v[52:53], 0x260
	s_delay_alu instid0(TRANS32_DEP_1)
	v_mul_f64_e32 v[62:63], v[52:53], v[54:55]
	s_clause 0x1
	global_load_b64 v[28:29], v22, s[16:17] scale_offset
	global_load_b64 v[26:27], v24, s[16:17] scale_offset
	global_load_b64 v[38:39], v[6:7], off
	global_load_b64 v[36:37], v[8:9], off
	;; [unrolled: 1-line block ×7, first 2 shown]
	v_mul_f64_e32 v[54:55], 0.5, v[54:55]
	s_delay_alu instid0(VALU_DEP_1) | instskip(NEXT) | instid1(VALU_DEP_1)
	v_fma_f64 v[64:65], -v[54:55], v[62:63], 0.5
	v_fmac_f64_e32 v[62:63], v[62:63], v[64:65]
	v_fmac_f64_e32 v[54:55], v[54:55], v[64:65]
	s_delay_alu instid0(VALU_DEP_2) | instskip(NEXT) | instid1(VALU_DEP_1)
	v_fma_f64 v[64:65], -v[62:63], v[62:63], v[52:53]
	v_fmac_f64_e32 v[62:63], v[64:65], v[54:55]
	s_delay_alu instid0(VALU_DEP_1) | instskip(NEXT) | instid1(VALU_DEP_1)
	v_fma_f64 v[64:65], -v[62:63], v[62:63], v[52:53]
	v_fmac_f64_e32 v[62:63], v[64:65], v[54:55]
	s_delay_alu instid0(VALU_DEP_1) | instskip(NEXT) | instid1(VALU_DEP_1)
	v_ldexp_f64 v[54:55], v[62:63], v21
	v_dual_cndmask_b32 v55, v55, v53 :: v_dual_cndmask_b32 v54, v54, v52
                                        ; implicit-def: $vgpr52_vgpr53
	s_wait_xcnt 0x0
	s_and_saveexec_b32 s26, s2
	s_delay_alu instid0(SALU_CYCLE_1)
	s_xor_b32 s2, exec_lo, s26
; %bb.8:                                ;   in Loop: Header=BB4_6 Depth=1
	s_delay_alu instid0(VALU_DEP_1)
	v_add_f64_e64 v[52:53], v[44:45], -v[54:55]
                                        ; implicit-def: $vgpr54_vgpr55
; %bb.9:                                ;   in Loop: Header=BB4_6 Depth=1
	s_and_not1_saveexec_b32 s2, s2
	s_cbranch_execz .LBB4_4
; %bb.10:                               ;   in Loop: Header=BB4_6 Depth=1
	v_add_f64_e32 v[52:53], v[44:45], v[54:55]
	s_branch .LBB4_4
.LBB4_11:
	s_mov_b32 s2, s15
.LBB4_12:
	s_delay_alu instid0(SALU_CYCLE_1) | instskip(SKIP_1) | instid1(VALU_DEP_1)
	v_mad_u32 v22, s2, s14, v1
	s_mov_b32 s15, exec_lo
	v_add_nc_u32_e32 v24, s14, v22
	s_wait_kmcnt 0x0
	global_load_b64 v[2:3], v24, s[20:21] scale_offset
	s_wait_loadcnt 0x0
	v_fma_f64 v[20:21], v[2:3], v[2:3], 0
	s_wait_xcnt 0x0
	s_delay_alu instid0(VALU_DEP_1)
	v_cmpx_neq_f64_e32 0, v[20:21]
	s_cbranch_execz .LBB4_18
; %bb.13:
	global_load_b64 v[10:11], v22, s[8:9] scale_offset
	v_mad_u32 v1, s2, s13, v1
	v_ashrrev_i32_e32 v25, 31, v24
	s_delay_alu instid0(VALU_DEP_1) | instskip(SKIP_1) | instid1(VALU_DEP_3)
	v_lshlrev_b64_e32 v[8:9], 3, v[24:25]
	s_wait_loadcnt 0x0
	v_dual_fma_f64 v[4:5], v[10:11], v[10:11], v[20:21] :: v_dual_add_nc_u32 v30, s13, v1
	v_cmp_nlt_f64_e64 s2, 0, v[10:11]
	s_delay_alu instid0(VALU_DEP_2) | instskip(SKIP_2) | instid1(VALU_DEP_2)
	v_cmp_gt_f64_e32 vcc_lo, 0x10000000, v[4:5]
	v_cndmask_b32_e64 v6, 0, 0x100, vcc_lo
	v_cndmask_b32_e64 v23, 0, 0xffffff80, vcc_lo
	v_ldexp_f64 v[26:27], v[4:5], v6
	v_add_nc_u64_e32 v[4:5], s[8:9], v[8:9]
	v_add_nc_u64_e32 v[6:7], s[10:11], v[8:9]
	;; [unrolled: 1-line block ×3, first 2 shown]
	s_delay_alu instid0(VALU_DEP_4) | instskip(SKIP_1) | instid1(TRANS32_DEP_1)
	v_rsq_f64_e32 v[28:29], v[26:27]
	v_cmp_class_f64_e64 vcc_lo, v[26:27], 0x260
	v_mul_f64_e32 v[32:33], v[26:27], v[28:29]
	v_mul_f64_e32 v[28:29], 0.5, v[28:29]
	s_delay_alu instid0(VALU_DEP_1) | instskip(NEXT) | instid1(VALU_DEP_1)
	v_fma_f64 v[34:35], -v[28:29], v[32:33], 0.5
	v_fmac_f64_e32 v[32:33], v[32:33], v[34:35]
	v_fmac_f64_e32 v[28:29], v[28:29], v[34:35]
	s_delay_alu instid0(VALU_DEP_2) | instskip(NEXT) | instid1(VALU_DEP_1)
	v_fma_f64 v[34:35], -v[32:33], v[32:33], v[26:27]
	v_fmac_f64_e32 v[32:33], v[34:35], v[28:29]
	s_delay_alu instid0(VALU_DEP_1) | instskip(NEXT) | instid1(VALU_DEP_1)
	v_fma_f64 v[34:35], -v[32:33], v[32:33], v[26:27]
	v_fmac_f64_e32 v[32:33], v[34:35], v[28:29]
	s_delay_alu instid0(VALU_DEP_1)
	v_ldexp_f64 v[28:29], v[32:33], v23
	v_ashrrev_i32_e32 v23, 31, v22
	global_load_b64 v[12:13], v30, s[16:17] scale_offset
	global_load_b64 v[14:15], v[4:5], off
	global_load_b64 v[16:17], v[6:7], off
	global_load_b64 v[18:19], v[8:9], off
	v_ashrrev_i32_e32 v31, 31, v30
                                        ; implicit-def: $vgpr32_vgpr33
	v_dual_cndmask_b32 v35, v29, v27 :: v_dual_cndmask_b32 v34, v28, v26
	s_wait_xcnt 0x0
	s_and_saveexec_b32 s22, s2
	s_delay_alu instid0(SALU_CYCLE_1)
	s_xor_b32 s2, exec_lo, s22
; %bb.14:
	s_delay_alu instid0(VALU_DEP_1)
	v_add_f64_e64 v[32:33], v[10:11], -v[34:35]
                                        ; implicit-def: $vgpr34_vgpr35
; %bb.15:
	s_or_saveexec_b32 s2, s2
	v_lshl_add_u64 v[26:27], v[24:25], 3, s[20:21]
	v_lshl_add_u64 v[24:25], v[30:31], 3, s[16:17]
	;; [unrolled: 1-line block ×3, first 2 shown]
	s_xor_b32 exec_lo, exec_lo, s2
; %bb.16:
	v_add_f64_e32 v[32:33], v[10:11], v[34:35]
; %bb.17:
	s_or_b32 exec_lo, exec_lo, s2
	s_delay_alu instid0(VALU_DEP_1)
	v_div_scale_f64 v[34:35], null, v[32:33], v[32:33], v[2:3]
	v_div_scale_f64 v[36:37], null, v[32:33], v[32:33], 0
	v_div_scale_f64 v[46:47], vcc_lo, v[2:3], v[32:33], v[2:3]
	v_fmac_f64_e32 v[20:21], v[32:33], v[32:33]
	v_lshl_add_u64 v[30:31], v[30:31], 3, s[4:5]
	v_lshlrev_b64_e32 v[22:23], 3, v[22:23]
	v_rcp_f64_e32 v[38:39], v[34:35]
	v_rcp_f64_e32 v[40:41], v[36:37]
	s_delay_alu instid0(TRANS32_DEP_2) | instskip(NEXT) | instid1(TRANS32_DEP_1)
	v_fma_f64 v[42:43], -v[34:35], v[38:39], 1.0
	v_fma_f64 v[44:45], -v[36:37], v[40:41], 1.0
	s_delay_alu instid0(VALU_DEP_2) | instskip(NEXT) | instid1(VALU_DEP_2)
	v_fmac_f64_e32 v[38:39], v[38:39], v[42:43]
	v_fmac_f64_e32 v[40:41], v[40:41], v[44:45]
	s_delay_alu instid0(VALU_DEP_2) | instskip(NEXT) | instid1(VALU_DEP_2)
	v_fma_f64 v[42:43], -v[34:35], v[38:39], 1.0
	v_fma_f64 v[44:45], -v[36:37], v[40:41], 1.0
	s_delay_alu instid0(VALU_DEP_2) | instskip(SKIP_1) | instid1(VALU_DEP_3)
	v_fmac_f64_e32 v[38:39], v[38:39], v[42:43]
	v_div_scale_f64 v[42:43], s2, 0, v[32:33], 0
	v_fmac_f64_e32 v[40:41], v[40:41], v[44:45]
	s_delay_alu instid0(VALU_DEP_3) | instskip(NEXT) | instid1(VALU_DEP_2)
	v_mul_f64_e32 v[44:45], v[46:47], v[38:39]
	v_mul_f64_e32 v[48:49], v[42:43], v[40:41]
	s_delay_alu instid0(VALU_DEP_2) | instskip(NEXT) | instid1(VALU_DEP_2)
	v_fma_f64 v[34:35], -v[34:35], v[44:45], v[46:47]
	v_fma_f64 v[36:37], -v[36:37], v[48:49], v[42:43]
	global_load_b64 v[42:43], v[30:31], off
	v_div_fmas_f64 v[34:35], v[34:35], v[38:39], v[44:45]
	v_mul_f64_e32 v[38:39], v[32:33], v[32:33]
	s_mov_b32 vcc_lo, s2
	v_div_fmas_f64 v[36:37], v[36:37], v[40:41], v[48:49]
	s_clause 0x2
	global_load_b64 v[40:41], v1, s[4:5] scale_offset
	global_load_b64 v[44:45], v1, s[6:7] scale_offset
	;; [unrolled: 1-line block ×3, first 2 shown]
	v_div_fixup_f64 v[34:35], v[34:35], v[32:33], v[2:3]
	v_add_f64_e32 v[38:39], v[38:39], v[38:39]
	v_div_fixup_f64 v[32:33], v[36:37], v[32:33], 0
	s_delay_alu instid0(VALU_DEP_3) | instskip(NEXT) | instid1(VALU_DEP_3)
	v_fma_f64 v[36:37], v[34:35], v[34:35], 1.0
	v_div_scale_f64 v[48:49], null, v[20:21], v[20:21], v[38:39]
	v_fma_f64 v[2:3], v[34:35], v[2:3], v[10:11]
	s_delay_alu instid0(VALU_DEP_3) | instskip(NEXT) | instid1(VALU_DEP_3)
	v_fmac_f64_e32 v[36:37], v[32:33], v[32:33]
	v_rcp_f64_e32 v[50:51], v[48:49]
	s_delay_alu instid0(VALU_DEP_2) | instskip(NEXT) | instid1(VALU_DEP_2)
	v_fmac_f64_e32 v[2:3], 0, v[32:33]
	v_div_scale_f64 v[52:53], null, v[36:37], v[36:37], 2.0
	v_div_scale_f64 v[62:63], s2, 2.0, v[36:37], 2.0
	s_delay_alu instid0(TRANS32_DEP_1) | instskip(NEXT) | instid1(VALU_DEP_3)
	v_fma_f64 v[56:57], -v[48:49], v[50:51], 1.0
	v_rcp_f64_e32 v[54:55], v[52:53]
	s_delay_alu instid0(VALU_DEP_1) | instskip(NEXT) | instid1(TRANS32_DEP_1)
	v_fmac_f64_e32 v[50:51], v[50:51], v[56:57]
	v_fma_f64 v[56:57], -v[52:53], v[54:55], 1.0
	s_delay_alu instid0(VALU_DEP_2) | instskip(NEXT) | instid1(VALU_DEP_2)
	v_fma_f64 v[58:59], -v[48:49], v[50:51], 1.0
	v_fmac_f64_e32 v[54:55], v[54:55], v[56:57]
	v_div_scale_f64 v[56:57], vcc_lo, v[38:39], v[20:21], v[38:39]
	s_delay_alu instid0(VALU_DEP_3) | instskip(NEXT) | instid1(VALU_DEP_3)
	v_fmac_f64_e32 v[50:51], v[50:51], v[58:59]
	v_fma_f64 v[58:59], -v[52:53], v[54:55], 1.0
	s_delay_alu instid0(VALU_DEP_2) | instskip(NEXT) | instid1(VALU_DEP_2)
	v_mul_f64_e32 v[60:61], v[56:57], v[50:51]
	v_fmac_f64_e32 v[54:55], v[54:55], v[58:59]
	v_add_nc_u64_e32 v[58:59], s[10:11], v[22:23]
	v_add_nc_u64_e32 v[22:23], s[18:19], v[22:23]
	s_delay_alu instid0(VALU_DEP_4)
	v_fma_f64 v[48:49], -v[48:49], v[60:61], v[56:57]
	s_wait_loadcnt 0x1
	v_fma_f64 v[42:43], v[34:35], v[42:43], v[44:45]
	v_mul_f64_e32 v[56:57], v[62:63], v[54:55]
	s_wait_loadcnt 0x0
	v_fma_f64 v[64:65], v[34:35], v[12:13], v[46:47]
	s_delay_alu instid0(VALU_DEP_4)
	v_div_fmas_f64 v[48:49], v[48:49], v[50:51], v[60:61]
	global_load_b64 v[50:51], v[58:59], off
	global_load_b64 v[60:61], v[22:23], off
	s_mov_b32 vcc_lo, s2
	v_fmac_f64_e32 v[42:43], 0, v[32:33]
	v_fma_f64 v[52:53], -v[52:53], v[56:57], v[62:63]
	v_fma_f64 v[62:63], v[34:35], v[18:19], v[40:41]
	v_fmac_f64_e32 v[64:65], 0, v[32:33]
	v_div_fixup_f64 v[20:21], v[48:49], v[20:21], v[38:39]
	s_delay_alu instid0(VALU_DEP_4) | instskip(NEXT) | instid1(VALU_DEP_4)
	v_div_fmas_f64 v[38:39], v[52:53], v[54:55], v[56:57]
	v_fmac_f64_e32 v[62:63], 0, v[32:33]
	s_delay_alu instid0(VALU_DEP_3) | instskip(NEXT) | instid1(VALU_DEP_3)
	v_fma_f64 v[2:3], -v[2:3], v[20:21], v[10:11]
	v_div_fixup_f64 v[36:37], v[38:39], v[36:37], 2.0
	s_delay_alu instid0(VALU_DEP_3) | instskip(SKIP_2) | instid1(VALU_DEP_4)
	v_fma_f64 v[38:39], -v[20:21], v[62:63], v[40:41]
	v_fma_f64 v[40:41], -v[20:21], v[42:43], v[44:45]
	v_mul_f64_e32 v[42:43], v[20:21], v[42:43]
	v_fma_f64 v[44:45], -v[36:37], v[64:65], v[46:47]
	s_clause 0x1
	global_store_b64 v1, v[38:39], s[4:5] scale_offset
	global_load_b64 v[38:39], v[30:31], off
	v_mul_f64_e32 v[36:37], v[36:37], v[64:65]
	s_delay_alu instid0(VALU_DEP_1) | instskip(SKIP_4) | instid1(VALU_DEP_2)
	v_fma_f64 v[12:13], -v[34:35], v[36:37], v[12:13]
	s_wait_loadcnt 0x2
	v_fma_f64 v[46:47], v[34:35], v[14:15], v[50:51]
	s_wait_loadcnt 0x1
	v_fma_f64 v[48:49], v[34:35], v[16:17], v[60:61]
	v_fmac_f64_e32 v[46:47], 0, v[32:33]
	s_delay_alu instid0(VALU_DEP_2) | instskip(SKIP_1) | instid1(VALU_DEP_3)
	v_fmac_f64_e32 v[48:49], 0, v[32:33]
	v_mul_f64_e32 v[32:33], v[20:21], v[62:63]
	v_mul_f64_e32 v[52:53], v[46:47], v[20:21]
	s_delay_alu instid0(VALU_DEP_3)
	v_mul_f64_e32 v[54:55], v[20:21], v[48:49]
	v_fma_f64 v[10:11], -v[46:47], v[20:21], v[50:51]
	v_fma_f64 v[20:21], -v[20:21], v[48:49], v[60:61]
	;; [unrolled: 1-line block ×5, first 2 shown]
	s_wait_loadcnt 0x0
	v_fma_f64 v[32:33], -v[42:43], v[34:35], v[38:39]
	global_store_b64 v[26:27], v[34:35], off
	global_store_b64 v[28:29], v[2:3], off
	;; [unrolled: 1-line block ×3, first 2 shown]
	s_clause 0x1
	global_store_b64 v[22:23], v[20:21], off
	global_store_b64 v[8:9], v[18:19], off
	global_store_b64 v[4:5], v[14:15], off
	global_store_b64 v[6:7], v[16:17], off
	s_clause 0x1
	global_store_b64 v1, v[40:41], s[6:7] scale_offset
	global_store_b64 v1, v[44:45], s[16:17] scale_offset
	global_store_b64 v[30:31], v[32:33], off
	global_store_b64 v[24:25], v[12:13], off
.LBB4_18:
	s_wait_xcnt 0x0
	s_or_b32 exec_lo, exec_lo, s15
.LBB4_19:
	s_cmp_lt_i32 s12, 1
	s_cbranch_scc1 .LBB4_32
; %bb.20:
	s_wait_xcnt 0x0
	s_load_b64 s[0:1], s[0:1], 0x38
	s_add_co_i32 s2, s12, 3
	s_add_co_i32 s15, s12, 2
	v_mad_u32 v5, s14, s2, v0
	v_mad_u32 v6, s14, s15, v0
	s_add_co_i32 s2, s12, 1
	s_add_co_i32 s15, s12, -1
	v_mad_u32 v4, s14, s12, v0
	v_mad_u32 v7, s14, s2, v0
	;; [unrolled: 1-line block ×4, first 2 shown]
	s_mov_b32 s2, s12
	s_branch .LBB4_22
.LBB4_21:                               ;   in Loop: Header=BB4_22 Depth=1
	s_wait_kmcnt 0x0
	v_lshl_add_u64 v[2:3], v[2:3], 3, s[16:17]
	v_subrev_nc_u32_e32 v4, s14, v4
	v_subrev_nc_u32_e32 v5, s14, v5
	;; [unrolled: 1-line block ×4, first 2 shown]
	global_load_b64 v[12:13], v[2:3], off
	global_load_b64 v[14:15], v10, s[8:9] scale_offset
	v_subrev_nc_u32_e32 v8, s14, v8
	v_subrev_nc_u32_e32 v9, s13, v9
	s_add_co_i32 s15, s2, -1
	s_cmp_gt_u32 s2, 1
	s_mov_b32 s2, s15
	s_wait_loadcnt 0x1
	v_add_f64_e64 v[0:1], v[12:13], -v[0:1]
	s_wait_loadcnt 0x0
	s_wait_xcnt 0x1
	s_delay_alu instid0(VALU_DEP_1) | instskip(NEXT) | instid1(VALU_DEP_1)
	v_div_scale_f64 v[2:3], null, v[14:15], v[14:15], v[0:1]
	v_rcp_f64_e32 v[12:13], v[2:3]
	v_nop
	s_delay_alu instid0(TRANS32_DEP_1) | instskip(NEXT) | instid1(VALU_DEP_1)
	v_fma_f64 v[16:17], -v[2:3], v[12:13], 1.0
	v_fmac_f64_e32 v[12:13], v[12:13], v[16:17]
	s_delay_alu instid0(VALU_DEP_1) | instskip(NEXT) | instid1(VALU_DEP_1)
	v_fma_f64 v[16:17], -v[2:3], v[12:13], 1.0
	v_fmac_f64_e32 v[12:13], v[12:13], v[16:17]
	v_div_scale_f64 v[16:17], vcc_lo, v[0:1], v[14:15], v[0:1]
	s_delay_alu instid0(VALU_DEP_1) | instskip(NEXT) | instid1(VALU_DEP_1)
	v_mul_f64_e32 v[18:19], v[16:17], v[12:13]
	v_fma_f64 v[2:3], -v[2:3], v[18:19], v[16:17]
	s_delay_alu instid0(VALU_DEP_1) | instskip(NEXT) | instid1(VALU_DEP_1)
	v_div_fmas_f64 v[2:3], v[2:3], v[12:13], v[18:19]
	v_div_fixup_f64 v[0:1], v[2:3], v[14:15], v[0:1]
	global_store_b64 v10, v[0:1], s[0:1] scale_offset
	s_cbranch_scc0 .LBB4_32
.LBB4_22:                               ; =>This Inner Loop Header: Depth=1
	s_wait_xcnt 0x0
	v_mov_b64_e32 v[0:1], 0
	s_delay_alu instid0(VALU_DEP_3)
	v_add_nc_u32_e32 v10, s3, v8
	s_cmp_ge_i32 s2, s12
	s_cbranch_scc1 .LBB4_24
; %bb.23:                               ;   in Loop: Header=BB4_22 Depth=1
	v_add_nc_u32_e32 v11, s3, v4
	s_wait_kmcnt 0x0
	global_load_b64 v[0:1], v10, s[10:11] scale_offset
	global_load_b64 v[2:3], v11, s[0:1] scale_offset
	s_wait_loadcnt 0x0
	v_fma_f64 v[0:1], v[0:1], v[2:3], 0
.LBB4_24:                               ;   in Loop: Header=BB4_22 Depth=1
	s_add_co_i32 s15, s2, 1
	s_delay_alu instid0(SALU_CYCLE_1)
	s_cmp_ge_i32 s15, s12
	s_cbranch_scc1 .LBB4_26
; %bb.25:                               ;   in Loop: Header=BB4_22 Depth=1
	s_wait_xcnt 0x0
	v_add_nc_u32_e32 v11, s3, v7
	s_wait_kmcnt 0x0
	global_load_b64 v[2:3], v10, s[18:19] scale_offset
	global_load_b64 v[12:13], v11, s[0:1] scale_offset
	s_wait_loadcnt 0x0
	v_fmac_f64_e32 v[0:1], v[2:3], v[12:13]
.LBB4_26:                               ;   in Loop: Header=BB4_22 Depth=1
	v_add_nc_u32_e32 v2, s3, v9
	s_add_co_i32 s15, s15, 1
	s_mov_b32 s20, -1
	s_cmp_lt_i32 s15, s12
	s_cbranch_scc0 .LBB4_29
; %bb.27:                               ;   in Loop: Header=BB4_22 Depth=1
	s_and_not1_b32 vcc_lo, exec_lo, s20
	s_cbranch_vccz .LBB4_30
.LBB4_28:                               ;   in Loop: Header=BB4_22 Depth=1
	s_add_co_i32 s15, s15, 1
	s_delay_alu instid0(SALU_CYCLE_1)
	s_cmp_ge_i32 s15, s12
	s_cbranch_scc1 .LBB4_21
	s_branch .LBB4_31
.LBB4_29:                               ;   in Loop: Header=BB4_22 Depth=1
	v_ashrrev_i32_e32 v3, 31, v2
	s_cbranch_execnz .LBB4_28
.LBB4_30:                               ;   in Loop: Header=BB4_22 Depth=1
	v_add_nc_u32_e32 v3, s3, v6
	s_wait_kmcnt 0x0
	global_load_b64 v[12:13], v2, s[4:5] scale_offset
	global_load_b64 v[14:15], v3, s[0:1] scale_offset
	s_wait_xcnt 0x0
	v_ashrrev_i32_e32 v3, 31, v2
	s_wait_loadcnt 0x0
	v_fmac_f64_e32 v[0:1], v[12:13], v[14:15]
	s_add_co_i32 s15, s15, 1
	s_delay_alu instid0(SALU_CYCLE_1)
	s_cmp_ge_i32 s15, s12
	s_cbranch_scc1 .LBB4_21
.LBB4_31:                               ;   in Loop: Header=BB4_22 Depth=1
	s_wait_kmcnt 0x0
	v_lshl_add_u64 v[12:13], v[2:3], 3, s[6:7]
	v_add_nc_u32_e32 v11, s3, v5
	global_load_b64 v[14:15], v[12:13], off
	global_load_b64 v[16:17], v11, s[0:1] scale_offset
	s_wait_loadcnt 0x0
	v_fmac_f64_e32 v[0:1], v[14:15], v[16:17]
	s_branch .LBB4_21
.LBB4_32:
	s_sendmsg sendmsg(MSG_DEALLOC_VGPRS)
	s_endpgm
	.section	.rodata,"a",@progbits
	.p2align	6, 0x0
	.amdhsa_kernel _ZN9rocsparseL44gpsv_interleaved_batch_householder_qr_kernelILj256EdEEviiiPT0_S2_S2_S2_S2_S2_S2_S2_S2_
		.amdhsa_group_segment_fixed_size 0
		.amdhsa_private_segment_fixed_size 0
		.amdhsa_kernarg_size 344
		.amdhsa_user_sgpr_count 2
		.amdhsa_user_sgpr_dispatch_ptr 0
		.amdhsa_user_sgpr_queue_ptr 0
		.amdhsa_user_sgpr_kernarg_segment_ptr 1
		.amdhsa_user_sgpr_dispatch_id 0
		.amdhsa_user_sgpr_kernarg_preload_length 0
		.amdhsa_user_sgpr_kernarg_preload_offset 0
		.amdhsa_user_sgpr_private_segment_size 0
		.amdhsa_wavefront_size32 1
		.amdhsa_uses_dynamic_stack 0
		.amdhsa_enable_private_segment 0
		.amdhsa_system_sgpr_workgroup_id_x 1
		.amdhsa_system_sgpr_workgroup_id_y 0
		.amdhsa_system_sgpr_workgroup_id_z 0
		.amdhsa_system_sgpr_workgroup_info 0
		.amdhsa_system_vgpr_workitem_id 0
		.amdhsa_next_free_vgpr 85
		.amdhsa_next_free_sgpr 27
		.amdhsa_named_barrier_count 0
		.amdhsa_reserve_vcc 1
		.amdhsa_float_round_mode_32 0
		.amdhsa_float_round_mode_16_64 0
		.amdhsa_float_denorm_mode_32 3
		.amdhsa_float_denorm_mode_16_64 3
		.amdhsa_fp16_overflow 0
		.amdhsa_memory_ordered 1
		.amdhsa_forward_progress 1
		.amdhsa_inst_pref_size 29
		.amdhsa_round_robin_scheduling 0
		.amdhsa_exception_fp_ieee_invalid_op 0
		.amdhsa_exception_fp_denorm_src 0
		.amdhsa_exception_fp_ieee_div_zero 0
		.amdhsa_exception_fp_ieee_overflow 0
		.amdhsa_exception_fp_ieee_underflow 0
		.amdhsa_exception_fp_ieee_inexact 0
		.amdhsa_exception_int_div_zero 0
	.end_amdhsa_kernel
	.section	.text._ZN9rocsparseL44gpsv_interleaved_batch_householder_qr_kernelILj256EdEEviiiPT0_S2_S2_S2_S2_S2_S2_S2_S2_,"axG",@progbits,_ZN9rocsparseL44gpsv_interleaved_batch_householder_qr_kernelILj256EdEEviiiPT0_S2_S2_S2_S2_S2_S2_S2_S2_,comdat
.Lfunc_end4:
	.size	_ZN9rocsparseL44gpsv_interleaved_batch_householder_qr_kernelILj256EdEEviiiPT0_S2_S2_S2_S2_S2_S2_S2_S2_, .Lfunc_end4-_ZN9rocsparseL44gpsv_interleaved_batch_householder_qr_kernelILj256EdEEviiiPT0_S2_S2_S2_S2_S2_S2_S2_S2_
                                        ; -- End function
	.set _ZN9rocsparseL44gpsv_interleaved_batch_householder_qr_kernelILj256EdEEviiiPT0_S2_S2_S2_S2_S2_S2_S2_S2_.num_vgpr, 85
	.set _ZN9rocsparseL44gpsv_interleaved_batch_householder_qr_kernelILj256EdEEviiiPT0_S2_S2_S2_S2_S2_S2_S2_S2_.num_agpr, 0
	.set _ZN9rocsparseL44gpsv_interleaved_batch_householder_qr_kernelILj256EdEEviiiPT0_S2_S2_S2_S2_S2_S2_S2_S2_.numbered_sgpr, 27
	.set _ZN9rocsparseL44gpsv_interleaved_batch_householder_qr_kernelILj256EdEEviiiPT0_S2_S2_S2_S2_S2_S2_S2_S2_.num_named_barrier, 0
	.set _ZN9rocsparseL44gpsv_interleaved_batch_householder_qr_kernelILj256EdEEviiiPT0_S2_S2_S2_S2_S2_S2_S2_S2_.private_seg_size, 0
	.set _ZN9rocsparseL44gpsv_interleaved_batch_householder_qr_kernelILj256EdEEviiiPT0_S2_S2_S2_S2_S2_S2_S2_S2_.uses_vcc, 1
	.set _ZN9rocsparseL44gpsv_interleaved_batch_householder_qr_kernelILj256EdEEviiiPT0_S2_S2_S2_S2_S2_S2_S2_S2_.uses_flat_scratch, 0
	.set _ZN9rocsparseL44gpsv_interleaved_batch_householder_qr_kernelILj256EdEEviiiPT0_S2_S2_S2_S2_S2_S2_S2_S2_.has_dyn_sized_stack, 0
	.set _ZN9rocsparseL44gpsv_interleaved_batch_householder_qr_kernelILj256EdEEviiiPT0_S2_S2_S2_S2_S2_S2_S2_S2_.has_recursion, 0
	.set _ZN9rocsparseL44gpsv_interleaved_batch_householder_qr_kernelILj256EdEEviiiPT0_S2_S2_S2_S2_S2_S2_S2_S2_.has_indirect_call, 0
	.section	.AMDGPU.csdata,"",@progbits
; Kernel info:
; codeLenInByte = 3704
; TotalNumSgprs: 29
; NumVgprs: 85
; ScratchSize: 0
; MemoryBound: 0
; FloatMode: 240
; IeeeMode: 1
; LDSByteSize: 0 bytes/workgroup (compile time only)
; SGPRBlocks: 0
; VGPRBlocks: 5
; NumSGPRsForWavesPerEU: 29
; NumVGPRsForWavesPerEU: 85
; NamedBarCnt: 0
; Occupancy: 10
; WaveLimiterHint : 0
; COMPUTE_PGM_RSRC2:SCRATCH_EN: 0
; COMPUTE_PGM_RSRC2:USER_SGPR: 2
; COMPUTE_PGM_RSRC2:TRAP_HANDLER: 0
; COMPUTE_PGM_RSRC2:TGID_X_EN: 1
; COMPUTE_PGM_RSRC2:TGID_Y_EN: 0
; COMPUTE_PGM_RSRC2:TGID_Z_EN: 0
; COMPUTE_PGM_RSRC2:TIDIG_COMP_CNT: 0
	.section	.text._ZN9rocsparseL39gpsv_interleaved_batch_givens_qr_kernelILj128EdEEviiiPT0_S2_S2_S2_S2_S2_S2_S2_,"axG",@progbits,_ZN9rocsparseL39gpsv_interleaved_batch_givens_qr_kernelILj128EdEEviiiPT0_S2_S2_S2_S2_S2_S2_S2_,comdat
	.globl	_ZN9rocsparseL39gpsv_interleaved_batch_givens_qr_kernelILj128EdEEviiiPT0_S2_S2_S2_S2_S2_S2_S2_ ; -- Begin function _ZN9rocsparseL39gpsv_interleaved_batch_givens_qr_kernelILj128EdEEviiiPT0_S2_S2_S2_S2_S2_S2_S2_
	.p2align	8
	.type	_ZN9rocsparseL39gpsv_interleaved_batch_givens_qr_kernelILj128EdEEviiiPT0_S2_S2_S2_S2_S2_S2_S2_,@function
_ZN9rocsparseL39gpsv_interleaved_batch_givens_qr_kernelILj128EdEEviiiPT0_S2_S2_S2_S2_S2_S2_S2_: ; @_ZN9rocsparseL39gpsv_interleaved_batch_givens_qr_kernelILj128EdEEviiiPT0_S2_S2_S2_S2_S2_S2_S2_
; %bb.0:
	s_load_b96 s[16:18], s[0:1], 0x0
	s_bfe_u32 s2, ttmp6, 0x4000c
	s_and_b32 s3, ttmp6, 15
	s_add_co_i32 s2, s2, 1
	s_getreg_b32 s4, hwreg(HW_REG_IB_STS2, 6, 4)
	s_mul_i32 s2, ttmp9, s2
	s_delay_alu instid0(SALU_CYCLE_1) | instskip(SKIP_2) | instid1(SALU_CYCLE_1)
	s_add_co_i32 s3, s3, s2
	s_cmp_eq_u32 s4, 0
	s_cselect_b32 s2, ttmp9, s3
	s_lshl_b32 s19, s2, 7
	s_mov_b32 s2, exec_lo
	v_or_b32_e32 v1, s19, v0
	s_wait_kmcnt 0x0
	s_delay_alu instid0(VALU_DEP_1)
	v_cmpx_gt_i32_e64 s17, v1
	s_cbranch_execz .LBB5_7
; %bb.1:
	s_clause 0x2
	s_load_b64 s[2:3], s[0:1], 0x48
	s_load_b128 s[12:15], s[0:1], 0x38
	s_load_b256 s[4:11], s[0:1], 0x18
	s_add_co_i32 s22, s16, -2
	s_cmp_lt_i32 s16, 3
	s_cbranch_scc1 .LBB5_4
; %bb.2:
	s_load_b64 s[20:21], s[0:1], 0x10
	v_dual_mov_b32 v2, v1 :: v_dual_mov_b32 v3, v1
	s_wait_xcnt 0x0
	s_lshl_b32 s1, s18, 1
	s_mov_b32 s23, s22
.LBB5_3:                                ; =>This Inner Loop Header: Depth=1
	s_wait_xcnt 0x0
	v_dual_add_nc_u32 v52, s1, v2 :: v_dual_add_nc_u32 v53, s18, v2
	s_add_co_i32 s23, s23, -1
	v_add_nc_u32_e32 v54, s17, v3
	s_cmp_eq_u32 s23, 0
	s_wait_kmcnt 0x0
	global_load_b64 v[4:5], v52, s[20:21] scale_offset
	s_clause 0x3
	global_load_b64 v[6:7], v53, s[4:5] scale_offset
	global_load_b64 v[8:9], v52, s[4:5] scale_offset
	;; [unrolled: 1-line block ×4, first 2 shown]
	s_clause 0x1
	global_load_b64 v[16:17], v53, s[8:9] scale_offset
	global_load_b64 v[18:19], v53, s[2:3] scale_offset
	global_load_b64 v[28:29], v52, s[8:9] scale_offset
	s_clause 0x1
	global_load_b64 v[34:35], v53, s[6:7] scale_offset
	global_load_b64 v[36:37], v53, s[10:11] scale_offset
	s_wait_loadcnt 0x9
	v_mul_f64_e32 v[14:15], v[4:5], v[4:5]
	s_wait_loadcnt 0x8
	s_delay_alu instid0(VALU_DEP_1) | instskip(NEXT) | instid1(VALU_DEP_1)
	v_fmac_f64_e32 v[14:15], v[6:7], v[6:7]
	v_cmp_gt_f64_e32 vcc_lo, 0x10000000, v[14:15]
	v_cndmask_b32_e64 v20, 0, 0x100, vcc_lo
	s_delay_alu instid0(VALU_DEP_1) | instskip(NEXT) | instid1(VALU_DEP_1)
	v_ldexp_f64 v[14:15], v[14:15], v20
	v_rsq_f64_e32 v[20:21], v[14:15]
	v_nop
	s_delay_alu instid0(TRANS32_DEP_1) | instskip(SKIP_1) | instid1(VALU_DEP_1)
	v_mul_f64_e32 v[22:23], v[14:15], v[20:21]
	v_mul_f64_e32 v[20:21], 0.5, v[20:21]
	v_fma_f64 v[24:25], -v[20:21], v[22:23], 0.5
	s_delay_alu instid0(VALU_DEP_1) | instskip(SKIP_1) | instid1(VALU_DEP_2)
	v_fmac_f64_e32 v[22:23], v[22:23], v[24:25]
	v_fmac_f64_e32 v[20:21], v[20:21], v[24:25]
	v_fma_f64 v[24:25], -v[22:23], v[22:23], v[14:15]
	s_delay_alu instid0(VALU_DEP_1) | instskip(NEXT) | instid1(VALU_DEP_1)
	v_fmac_f64_e32 v[22:23], v[24:25], v[20:21]
	v_fma_f64 v[24:25], -v[22:23], v[22:23], v[14:15]
	s_delay_alu instid0(VALU_DEP_1) | instskip(SKIP_2) | instid1(VALU_DEP_2)
	v_fmac_f64_e32 v[22:23], v[24:25], v[20:21]
	v_cndmask_b32_e64 v20, 0, 0xffffff80, vcc_lo
	v_cmp_class_f64_e64 vcc_lo, v[14:15], 0x260
	v_ldexp_f64 v[20:21], v[22:23], v20
	s_delay_alu instid0(VALU_DEP_1) | instskip(NEXT) | instid1(VALU_DEP_1)
	v_dual_cndmask_b32 v15, v21, v15 :: v_dual_cndmask_b32 v14, v20, v14
	v_div_scale_f64 v[20:21], null, v[14:15], v[14:15], v[6:7]
	v_div_scale_f64 v[22:23], null, v[14:15], v[14:15], v[4:5]
	v_div_scale_f64 v[40:41], vcc_lo, v[6:7], v[14:15], v[6:7]
	s_delay_alu instid0(VALU_DEP_3) | instskip(NEXT) | instid1(VALU_DEP_2)
	v_rcp_f64_e32 v[24:25], v[20:21]
	v_rcp_f64_e32 v[26:27], v[22:23]
	s_delay_alu instid0(TRANS32_DEP_2) | instskip(NEXT) | instid1(TRANS32_DEP_1)
	v_fma_f64 v[30:31], -v[20:21], v[24:25], 1.0
	v_fma_f64 v[32:33], -v[22:23], v[26:27], 1.0
	s_delay_alu instid0(VALU_DEP_2) | instskip(SKIP_3) | instid1(VALU_DEP_2)
	v_fmac_f64_e32 v[24:25], v[24:25], v[30:31]
	global_load_b64 v[30:31], v52, s[10:11] scale_offset
	v_fmac_f64_e32 v[26:27], v[26:27], v[32:33]
	v_fma_f64 v[32:33], -v[20:21], v[24:25], 1.0
	v_fma_f64 v[38:39], -v[22:23], v[26:27], 1.0
	s_delay_alu instid0(VALU_DEP_2) | instskip(SKIP_1) | instid1(VALU_DEP_3)
	v_fmac_f64_e32 v[24:25], v[24:25], v[32:33]
	v_div_scale_f64 v[32:33], s0, v[4:5], v[14:15], v[4:5]
	v_fmac_f64_e32 v[26:27], v[26:27], v[38:39]
	s_delay_alu instid0(VALU_DEP_3) | instskip(NEXT) | instid1(VALU_DEP_2)
	v_mul_f64_e32 v[38:39], v[40:41], v[24:25]
	v_mul_f64_e32 v[42:43], v[32:33], v[26:27]
	s_delay_alu instid0(VALU_DEP_2) | instskip(NEXT) | instid1(VALU_DEP_2)
	v_fma_f64 v[20:21], -v[20:21], v[38:39], v[40:41]
	v_fma_f64 v[22:23], -v[22:23], v[42:43], v[32:33]
	s_delay_alu instid0(VALU_DEP_2) | instskip(SKIP_1) | instid1(VALU_DEP_2)
	v_div_fmas_f64 v[20:21], v[20:21], v[24:25], v[38:39]
	s_mov_b32 vcc_lo, s0
	v_div_fmas_f64 v[22:23], v[22:23], v[26:27], v[42:43]
	s_delay_alu instid0(VALU_DEP_1) | instskip(NEXT) | instid1(VALU_DEP_3)
	v_div_fixup_f64 v[22:23], v[22:23], v[14:15], v[4:5]
	v_div_fixup_f64 v[14:15], v[20:21], v[14:15], v[6:7]
	s_wait_loadcnt 0x6
	s_delay_alu instid0(VALU_DEP_2) | instskip(NEXT) | instid1(VALU_DEP_2)
	v_mul_f64_e32 v[20:21], v[22:23], v[12:13]
	v_mul_f64_e32 v[12:13], v[14:15], v[12:13]
	s_wait_loadcnt 0x3
	v_mul_f64_e32 v[24:25], v[22:23], v[28:29]
	v_mul_f64_e32 v[26:27], v[10:11], v[14:15]
	;; [unrolled: 1-line block ×5, first 2 shown]
	v_fmac_f64_e32 v[20:21], v[18:19], v[14:15]
	v_fma_f64 v[12:13], -v[18:19], v[22:23], v[12:13]
	v_mul_f64_e32 v[18:19], v[8:9], v[22:23]
	s_wait_loadcnt 0x1
	v_fmac_f64_e32 v[24:25], v[36:37], v[14:15]
	v_fmac_f64_e32 v[4:5], v[6:7], v[14:15]
	v_fmac_f64_e32 v[10:11], v[16:17], v[14:15]
	v_fma_f64 v[6:7], -v[36:37], v[22:23], v[28:29]
	v_mul_f64_e32 v[8:9], v[8:9], v[14:15]
	s_clause 0x1
	global_store_b64 v53, v[20:21], s[2:3] scale_offset
	global_store_b64 v52, v[12:13], s[2:3] scale_offset
	s_wait_xcnt 0x1
	v_fma_f64 v[20:21], -v[16:17], v[22:23], v[26:27]
	v_fmac_f64_e32 v[18:19], v[34:35], v[14:15]
	global_load_b64 v[12:13], v53, s[2:3] scale_offset
	v_mul_f64_e32 v[16:17], v[4:5], v[4:5]
	s_clause 0x1
	global_store_b64 v53, v[18:19], s[6:7] scale_offset
	global_store_b64 v53, v[24:25], s[10:11] scale_offset
	s_clause 0x1
	global_store_b64 v52, v[20:21], s[6:7] scale_offset
	global_load_b64 v[20:21], v2, s[6:7] scale_offset
	s_wait_loadcnt 0x2
	v_mul_f64_e32 v[26:27], v[14:15], v[30:31]
	v_mul_f64_e32 v[30:31], v[22:23], v[30:31]
	v_fma_f64 v[8:9], -v[34:35], v[22:23], v[8:9]
	s_clause 0x2
	global_store_b64 v53, v[10:11], s[8:9] scale_offset
	global_store_b64 v52, v[6:7], s[8:9] scale_offset
	;; [unrolled: 1-line block ×3, first 2 shown]
	s_clause 0x2
	global_load_b64 v[6:7], v2, s[8:9] scale_offset
	global_load_b64 v[26:27], v2, s[10:11] scale_offset
	;; [unrolled: 1-line block ×3, first 2 shown]
	global_store_b64 v53, v[4:5], s[4:5] scale_offset
	s_clause 0x1
	global_store_b64 v54, v[30:31], s[12:13] scale_offset
	global_load_b64 v[42:43], v3, s[12:13] scale_offset
	global_store_b64 v52, v[8:9], s[4:5] scale_offset
	s_wait_loadcnt 0x4
	v_fmac_f64_e32 v[16:17], v[20:21], v[20:21]
	s_delay_alu instid0(VALU_DEP_1) | instskip(SKIP_1) | instid1(VALU_DEP_1)
	v_cmp_gt_f64_e32 vcc_lo, 0x10000000, v[16:17]
	v_cndmask_b32_e64 v32, 0, 0x100, vcc_lo
	v_ldexp_f64 v[16:17], v[16:17], v32
	s_delay_alu instid0(VALU_DEP_1) | instskip(SKIP_1) | instid1(TRANS32_DEP_1)
	v_rsq_f64_e32 v[32:33], v[16:17]
	v_nop
	v_mul_f64_e32 v[36:37], v[16:17], v[32:33]
	v_mul_f64_e32 v[32:33], 0.5, v[32:33]
	s_delay_alu instid0(VALU_DEP_1) | instskip(NEXT) | instid1(VALU_DEP_1)
	v_fma_f64 v[38:39], -v[32:33], v[36:37], 0.5
	v_fmac_f64_e32 v[36:37], v[36:37], v[38:39]
	v_fmac_f64_e32 v[32:33], v[32:33], v[38:39]
	s_delay_alu instid0(VALU_DEP_2) | instskip(NEXT) | instid1(VALU_DEP_1)
	v_fma_f64 v[38:39], -v[36:37], v[36:37], v[16:17]
	v_fmac_f64_e32 v[36:37], v[38:39], v[32:33]
	s_delay_alu instid0(VALU_DEP_1) | instskip(NEXT) | instid1(VALU_DEP_1)
	v_fma_f64 v[38:39], -v[36:37], v[36:37], v[16:17]
	v_fmac_f64_e32 v[36:37], v[38:39], v[32:33]
	v_cndmask_b32_e64 v32, 0, 0xffffff80, vcc_lo
	v_cmp_class_f64_e64 vcc_lo, v[16:17], 0x260
	s_delay_alu instid0(VALU_DEP_2) | instskip(NEXT) | instid1(VALU_DEP_1)
	v_ldexp_f64 v[32:33], v[36:37], v32
	v_dual_cndmask_b32 v17, v33, v17 :: v_dual_cndmask_b32 v16, v32, v16
	s_delay_alu instid0(VALU_DEP_1) | instskip(SKIP_2) | instid1(VALU_DEP_3)
	v_div_scale_f64 v[32:33], null, v[16:17], v[16:17], v[20:21]
	v_div_scale_f64 v[36:37], null, v[16:17], v[16:17], v[4:5]
	v_div_scale_f64 v[48:49], vcc_lo, v[20:21], v[16:17], v[20:21]
	v_rcp_f64_e32 v[38:39], v[32:33]
	s_delay_alu instid0(VALU_DEP_2) | instskip(NEXT) | instid1(TRANS32_DEP_2)
	v_rcp_f64_e32 v[40:41], v[36:37]
	v_fma_f64 v[44:45], -v[32:33], v[38:39], 1.0
	s_delay_alu instid0(TRANS32_DEP_1) | instskip(NEXT) | instid1(VALU_DEP_2)
	v_fma_f64 v[46:47], -v[36:37], v[40:41], 1.0
	v_fmac_f64_e32 v[38:39], v[38:39], v[44:45]
	s_delay_alu instid0(VALU_DEP_2) | instskip(NEXT) | instid1(VALU_DEP_2)
	v_fmac_f64_e32 v[40:41], v[40:41], v[46:47]
	v_fma_f64 v[44:45], -v[32:33], v[38:39], 1.0
	s_delay_alu instid0(VALU_DEP_2) | instskip(NEXT) | instid1(VALU_DEP_2)
	v_fma_f64 v[46:47], -v[36:37], v[40:41], 1.0
	v_fmac_f64_e32 v[38:39], v[38:39], v[44:45]
	v_div_scale_f64 v[44:45], s0, v[4:5], v[16:17], v[4:5]
	s_delay_alu instid0(VALU_DEP_3) | instskip(NEXT) | instid1(VALU_DEP_3)
	v_fmac_f64_e32 v[40:41], v[40:41], v[46:47]
	v_mul_f64_e32 v[46:47], v[48:49], v[38:39]
	s_delay_alu instid0(VALU_DEP_2) | instskip(NEXT) | instid1(VALU_DEP_2)
	v_mul_f64_e32 v[50:51], v[44:45], v[40:41]
	v_fma_f64 v[32:33], -v[32:33], v[46:47], v[48:49]
	s_delay_alu instid0(VALU_DEP_2) | instskip(NEXT) | instid1(VALU_DEP_2)
	v_fma_f64 v[36:37], -v[36:37], v[50:51], v[44:45]
	v_div_fmas_f64 v[32:33], v[32:33], v[38:39], v[46:47]
	s_mov_b32 vcc_lo, s0
	s_delay_alu instid0(VALU_DEP_2) | instskip(NEXT) | instid1(VALU_DEP_1)
	v_div_fmas_f64 v[36:37], v[36:37], v[40:41], v[50:51]
	v_div_fixup_f64 v[36:37], v[36:37], v[16:17], v[4:5]
	s_delay_alu instid0(VALU_DEP_3) | instskip(NEXT) | instid1(VALU_DEP_2)
	v_div_fixup_f64 v[16:17], v[32:33], v[16:17], v[20:21]
	v_mul_f64_e32 v[14:15], v[24:25], v[36:37]
	v_mul_f64_e32 v[32:33], v[4:5], v[36:37]
	v_mul_f64_e32 v[38:39], v[18:19], v[36:37]
	v_mul_f64_e32 v[40:41], v[10:11], v[36:37]
	v_mul_f64_e32 v[18:19], v[18:19], v[16:17]
	v_mul_f64_e32 v[44:45], v[36:37], v[12:13]
	v_mul_f64_e32 v[10:11], v[10:11], v[16:17]
	v_mul_f64_e32 v[24:25], v[24:25], v[16:17]
	v_mul_f64_e32 v[12:13], v[16:17], v[12:13]
	v_mul_f64_e32 v[22:23], v[30:31], v[16:17]
	s_wait_xcnt 0x2
	v_mul_f64_e32 v[30:31], v[30:31], v[36:37]
	s_wait_loadcnt 0x0
	v_fmac_f64_e32 v[14:15], v[42:43], v[16:17]
	v_fmac_f64_e32 v[32:33], v[20:21], v[16:17]
	;; [unrolled: 1-line block ×4, first 2 shown]
	v_fma_f64 v[6:7], -v[6:7], v[36:37], v[18:19]
	v_fmac_f64_e32 v[44:45], v[28:29], v[16:17]
	v_fma_f64 v[10:11], -v[26:27], v[36:37], v[10:11]
	v_fma_f64 v[16:17], -v[42:43], v[36:37], v[24:25]
	;; [unrolled: 1-line block ×3, first 2 shown]
	s_clause 0x1
	global_store_b64 v3, v[14:15], s[12:13] scale_offset
	global_store_b64 v54, v[22:23], s[12:13] scale_offset
	;; [unrolled: 1-line block ×3, first 2 shown]
	s_clause 0x3
	global_store_b64 v2, v[32:33], s[6:7] scale_offset
	global_store_b64 v2, v[38:39], s[8:9] scale_offset
	;; [unrolled: 1-line block ×4, first 2 shown]
	s_wait_xcnt 0x0
	v_dual_mov_b32 v2, v53 :: v_dual_mov_b32 v3, v54
	s_clause 0x3
	global_store_b64 v53, v[6:7], s[6:7] scale_offset
	global_store_b64 v53, v[10:11], s[8:9] scale_offset
	;; [unrolled: 1-line block ×4, first 2 shown]
	s_cbranch_scc0 .LBB5_3
.LBB5_4:
	s_wait_xcnt 0x0
	s_add_co_i32 s0, s16, -1
	s_delay_alu instid0(SALU_CYCLE_1) | instskip(NEXT) | instid1(SALU_CYCLE_1)
	s_mul_i32 s1, s18, s0
	v_add_nc_u32_e32 v34, s1, v1
	s_wait_kmcnt 0x0
	global_load_b64 v[2:3], v34, s[4:5] scale_offset
	s_wait_xcnt 0x0
	s_sub_co_i32 s4, s1, s18
	s_delay_alu instid0(SALU_CYCLE_1)
	v_add_nc_u32_e32 v35, s4, v1
	s_clause 0x3
	global_load_b64 v[4:5], v35, s[6:7] scale_offset
	global_load_b64 v[6:7], v34, s[6:7] scale_offset
	;; [unrolled: 1-line block ×4, first 2 shown]
	s_clause 0x1
	global_load_b64 v[14:15], v35, s[8:9] scale_offset
	global_load_b64 v[16:17], v35, s[2:3] scale_offset
	s_wait_loadcnt 0x6
	v_mul_f64_e32 v[12:13], v[2:3], v[2:3]
	s_wait_loadcnt 0x5
	s_delay_alu instid0(VALU_DEP_1) | instskip(NEXT) | instid1(VALU_DEP_1)
	v_fmac_f64_e32 v[12:13], v[4:5], v[4:5]
	v_cmp_gt_f64_e32 vcc_lo, 0x10000000, v[12:13]
	v_cndmask_b32_e64 v18, 0, 0x100, vcc_lo
	s_delay_alu instid0(VALU_DEP_1) | instskip(NEXT) | instid1(VALU_DEP_1)
	v_ldexp_f64 v[12:13], v[12:13], v18
	v_rsq_f64_e32 v[18:19], v[12:13]
	v_nop
	s_delay_alu instid0(TRANS32_DEP_1) | instskip(SKIP_1) | instid1(VALU_DEP_1)
	v_mul_f64_e32 v[20:21], v[12:13], v[18:19]
	v_mul_f64_e32 v[18:19], 0.5, v[18:19]
	v_fma_f64 v[22:23], -v[18:19], v[20:21], 0.5
	s_delay_alu instid0(VALU_DEP_1) | instskip(SKIP_1) | instid1(VALU_DEP_2)
	v_fmac_f64_e32 v[20:21], v[20:21], v[22:23]
	v_fmac_f64_e32 v[18:19], v[18:19], v[22:23]
	v_fma_f64 v[22:23], -v[20:21], v[20:21], v[12:13]
	s_delay_alu instid0(VALU_DEP_1) | instskip(NEXT) | instid1(VALU_DEP_1)
	v_fmac_f64_e32 v[20:21], v[22:23], v[18:19]
	v_fma_f64 v[22:23], -v[20:21], v[20:21], v[12:13]
	s_delay_alu instid0(VALU_DEP_1) | instskip(SKIP_2) | instid1(VALU_DEP_2)
	v_fmac_f64_e32 v[20:21], v[22:23], v[18:19]
	v_cndmask_b32_e64 v18, 0, 0xffffff80, vcc_lo
	v_cmp_class_f64_e64 vcc_lo, v[12:13], 0x260
	v_ldexp_f64 v[18:19], v[20:21], v18
	s_delay_alu instid0(VALU_DEP_1) | instskip(NEXT) | instid1(VALU_DEP_1)
	v_dual_cndmask_b32 v13, v19, v13 :: v_dual_cndmask_b32 v12, v18, v12
	v_div_scale_f64 v[18:19], null, v[12:13], v[12:13], v[4:5]
	v_div_scale_f64 v[20:21], null, v[12:13], v[12:13], v[2:3]
	v_div_scale_f64 v[30:31], vcc_lo, v[4:5], v[12:13], v[4:5]
	s_delay_alu instid0(VALU_DEP_3) | instskip(NEXT) | instid1(VALU_DEP_2)
	v_rcp_f64_e32 v[22:23], v[18:19]
	v_rcp_f64_e32 v[24:25], v[20:21]
	s_delay_alu instid0(TRANS32_DEP_2) | instskip(NEXT) | instid1(TRANS32_DEP_1)
	v_fma_f64 v[26:27], -v[18:19], v[22:23], 1.0
	v_fma_f64 v[28:29], -v[20:21], v[24:25], 1.0
	s_delay_alu instid0(VALU_DEP_2) | instskip(NEXT) | instid1(VALU_DEP_2)
	v_fmac_f64_e32 v[22:23], v[22:23], v[26:27]
	v_fmac_f64_e32 v[24:25], v[24:25], v[28:29]
	s_delay_alu instid0(VALU_DEP_2) | instskip(NEXT) | instid1(VALU_DEP_2)
	v_fma_f64 v[26:27], -v[18:19], v[22:23], 1.0
	v_fma_f64 v[28:29], -v[20:21], v[24:25], 1.0
	s_delay_alu instid0(VALU_DEP_2) | instskip(SKIP_1) | instid1(VALU_DEP_3)
	v_fmac_f64_e32 v[22:23], v[22:23], v[26:27]
	v_div_scale_f64 v[26:27], s0, v[2:3], v[12:13], v[2:3]
	v_fmac_f64_e32 v[24:25], v[24:25], v[28:29]
	s_delay_alu instid0(VALU_DEP_3) | instskip(NEXT) | instid1(VALU_DEP_2)
	v_mul_f64_e32 v[28:29], v[30:31], v[22:23]
	v_mul_f64_e32 v[32:33], v[26:27], v[24:25]
	s_delay_alu instid0(VALU_DEP_2) | instskip(NEXT) | instid1(VALU_DEP_2)
	v_fma_f64 v[18:19], -v[18:19], v[28:29], v[30:31]
	v_fma_f64 v[20:21], -v[20:21], v[32:33], v[26:27]
	global_load_b64 v[26:27], v35, s[10:11] scale_offset
	v_div_fmas_f64 v[18:19], v[18:19], v[22:23], v[28:29]
	s_mov_b32 vcc_lo, s0
	s_sub_co_i32 s0, s4, s18
	v_div_fmas_f64 v[20:21], v[20:21], v[24:25], v[32:33]
	s_delay_alu instid0(VALU_DEP_2) | instskip(NEXT) | instid1(VALU_DEP_2)
	v_div_fixup_f64 v[18:19], v[18:19], v[12:13], v[4:5]
	v_div_fixup_f64 v[12:13], v[20:21], v[12:13], v[2:3]
	s_wait_loadcnt 0x5
	s_delay_alu instid0(VALU_DEP_2) | instskip(SKIP_2) | instid1(VALU_DEP_3)
	v_mul_f64_e32 v[20:21], v[6:7], v[18:19]
	s_wait_loadcnt 0x3
	v_mul_f64_e32 v[22:23], v[18:19], v[10:11]
	v_mul_f64_e32 v[10:11], v[12:13], v[10:11]
	;; [unrolled: 1-line block ×4, first 2 shown]
	s_wait_loadcnt 0x2
	v_fma_f64 v[20:21], -v[14:15], v[12:13], v[20:21]
	s_wait_loadcnt 0x1
	v_fma_f64 v[22:23], -v[16:17], v[12:13], v[22:23]
	v_fmac_f64_e32 v[10:11], v[16:17], v[18:19]
	v_mul_f64_e32 v[16:17], v[8:9], v[18:19]
	v_fmac_f64_e32 v[2:3], v[4:5], v[18:19]
	v_fmac_f64_e32 v[6:7], v[14:15], v[18:19]
	v_div_scale_f64 v[24:25], null, v[20:21], v[20:21], v[22:23]
	v_div_scale_f64 v[32:33], vcc_lo, v[22:23], v[20:21], v[22:23]
	s_delay_alu instid0(VALU_DEP_2) | instskip(SKIP_1) | instid1(TRANS32_DEP_1)
	v_rcp_f64_e32 v[28:29], v[24:25]
	v_nop
	v_fma_f64 v[30:31], -v[24:25], v[28:29], 1.0
	s_delay_alu instid0(VALU_DEP_1) | instskip(NEXT) | instid1(VALU_DEP_1)
	v_fmac_f64_e32 v[28:29], v[28:29], v[30:31]
	v_fma_f64 v[30:31], -v[24:25], v[28:29], 1.0
	s_wait_loadcnt 0x0
	v_fma_f64 v[14:15], -v[26:27], v[12:13], v[16:17]
	s_delay_alu instid0(VALU_DEP_2) | instskip(NEXT) | instid1(VALU_DEP_1)
	v_fmac_f64_e32 v[28:29], v[28:29], v[30:31]
	v_mul_f64_e32 v[30:31], v[32:33], v[28:29]
	s_delay_alu instid0(VALU_DEP_1) | instskip(NEXT) | instid1(VALU_DEP_1)
	v_fma_f64 v[24:25], -v[24:25], v[30:31], v[32:33]
	v_div_fmas_f64 v[24:25], v[24:25], v[28:29], v[30:31]
	v_add_nc_u32_e32 v28, s0, v1
	s_sub_co_i32 s0, s0, s18
	s_cmp_lt_i32 s16, 5
	s_delay_alu instid0(VALU_DEP_2)
	v_div_fixup_f64 v[4:5], v[24:25], v[20:21], v[22:23]
	v_mad_u32 v24, s17, s22, v1
	v_add_nc_u32_e32 v1, s0, v1
	s_clause 0x1
	global_store_b64 v35, v[2:3], s[6:7] scale_offset
	global_store_b64 v35, v[10:11], s[2:3] scale_offset
	s_clause 0x1
	global_store_b64 v34, v[20:21], s[6:7] scale_offset
	global_store_b64 v34, v[4:5], s[2:3] scale_offset
	s_clause 0x4
	global_load_b64 v[2:3], v35, s[6:7] scale_offset
	global_load_b64 v[10:11], v35, s[2:3] scale_offset
	global_store_b64 v35, v[6:7], s[8:9] scale_offset
	global_store_b64 v34, v[14:15], s[8:9] scale_offset
	global_load_b64 v[6:7], v35, s[8:9] scale_offset
	global_load_b64 v[16:17], v24, s[12:13] scale_offset
	s_wait_loadcnt 0x1
	v_dual_fma_f64 v[4:5], -v[4:5], v[6:7], v[10:11] :: v_dual_add_nc_u32 v25, s17, v24
	global_load_b64 v[10:11], v34, s[10:11] scale_offset
	v_div_scale_f64 v[6:7], null, v[2:3], v[2:3], v[4:5]
	v_div_scale_f64 v[22:23], vcc_lo, v[4:5], v[2:3], v[4:5]
	s_wait_xcnt 0x3
	s_delay_alu instid0(VALU_DEP_2) | instskip(SKIP_1) | instid1(TRANS32_DEP_1)
	v_rcp_f64_e32 v[14:15], v[6:7]
	v_nop
	v_fma_f64 v[20:21], -v[6:7], v[14:15], 1.0
	s_delay_alu instid0(VALU_DEP_1) | instskip(NEXT) | instid1(VALU_DEP_1)
	v_fmac_f64_e32 v[14:15], v[14:15], v[20:21]
	v_fma_f64 v[20:21], -v[6:7], v[14:15], 1.0
	s_delay_alu instid0(VALU_DEP_1) | instskip(NEXT) | instid1(VALU_DEP_1)
	v_fmac_f64_e32 v[14:15], v[14:15], v[20:21]
	v_mul_f64_e32 v[20:21], v[22:23], v[14:15]
	s_delay_alu instid0(VALU_DEP_1) | instskip(NEXT) | instid1(VALU_DEP_1)
	v_fma_f64 v[6:7], -v[6:7], v[20:21], v[22:23]
	v_div_fmas_f64 v[6:7], v[6:7], v[14:15], v[20:21]
	global_load_b64 v[14:15], v25, s[12:13] scale_offset
	v_div_fixup_f64 v[2:3], v[6:7], v[2:3], v[4:5]
	v_mul_f64_e32 v[4:5], v[8:9], v[12:13]
	s_clause 0x1
	global_store_b64 v35, v[2:3], s[2:3] scale_offset
	global_load_b64 v[6:7], v34, s[2:3] scale_offset
	s_wait_loadcnt 0x2
	v_mul_f64_e32 v[8:9], v[18:19], v[10:11]
	v_fmac_f64_e32 v[4:5], v[26:27], v[18:19]
	s_clause 0x1
	global_load_b64 v[20:21], v28, s[2:3] scale_offset
	global_load_b64 v[22:23], v28, s[8:9] scale_offset
	v_fma_f64 v[8:9], -v[16:17], v[12:13], v[8:9]
	s_clause 0x3
	global_store_b64 v35, v[4:5], s[10:11] scale_offset
	global_store_b64 v34, v[8:9], s[10:11] scale_offset
	global_load_b64 v[4:5], v28, s[10:11] scale_offset
	global_load_b64 v[8:9], v28, s[6:7] scale_offset
	s_wait_loadcnt 0x2
	v_fma_f64 v[2:3], -v[2:3], v[22:23], v[20:21]
	s_wait_loadcnt 0x1
	s_delay_alu instid0(VALU_DEP_1) | instskip(SKIP_1) | instid1(VALU_DEP_1)
	v_fma_f64 v[2:3], -v[4:5], v[6:7], v[2:3]
	s_wait_loadcnt 0x0
	v_div_scale_f64 v[4:5], null, v[8:9], v[8:9], v[2:3]
	v_div_scale_f64 v[22:23], vcc_lo, v[2:3], v[8:9], v[2:3]
	s_delay_alu instid0(VALU_DEP_2) | instskip(SKIP_1) | instid1(TRANS32_DEP_1)
	v_rcp_f64_e32 v[6:7], v[4:5]
	v_nop
	v_fma_f64 v[20:21], -v[4:5], v[6:7], 1.0
	s_delay_alu instid0(VALU_DEP_1) | instskip(NEXT) | instid1(VALU_DEP_1)
	v_fmac_f64_e32 v[6:7], v[6:7], v[20:21]
	v_fma_f64 v[20:21], -v[4:5], v[6:7], 1.0
	s_delay_alu instid0(VALU_DEP_1) | instskip(NEXT) | instid1(VALU_DEP_1)
	v_fmac_f64_e32 v[6:7], v[6:7], v[20:21]
	v_mul_f64_e32 v[20:21], v[22:23], v[6:7]
	s_delay_alu instid0(VALU_DEP_1) | instskip(NEXT) | instid1(VALU_DEP_1)
	v_fma_f64 v[4:5], -v[4:5], v[20:21], v[22:23]
	v_div_fmas_f64 v[4:5], v[4:5], v[6:7], v[20:21]
	v_mad_u32 v20, s17, -3, v25
	s_delay_alu instid0(VALU_DEP_2)
	v_div_fixup_f64 v[2:3], v[4:5], v[8:9], v[2:3]
	v_mul_f64_e32 v[4:5], v[12:13], v[10:11]
	v_mul_f64_e32 v[10:11], v[18:19], v[14:15]
	;; [unrolled: 1-line block ×3, first 2 shown]
	s_clause 0x2
	global_store_b64 v28, v[2:3], s[2:3] scale_offset
	global_load_b64 v[6:7], v1, s[2:3] scale_offset
	global_load_b64 v[8:9], v1, s[8:9] scale_offset
	v_fmac_f64_e32 v[4:5], v[16:17], v[18:19]
	global_load_b64 v[16:17], v1, s[10:11] scale_offset
	global_load_b64 v[18:19], v35, s[2:3] scale_offset
	s_clause 0x2
	global_store_b64 v24, v[4:5], s[12:13] scale_offset
	global_store_b64 v25, v[10:11], s[12:13] scale_offset
	global_load_b64 v[4:5], v20, s[12:13] scale_offset
	global_load_b64 v[10:11], v34, s[2:3] scale_offset
	;; [unrolled: 1-line block ×3, first 2 shown]
	s_wait_loadcnt 0x5
	v_fma_f64 v[2:3], -v[2:3], v[8:9], v[6:7]
	s_wait_loadcnt 0x3
	s_delay_alu instid0(VALU_DEP_1) | instskip(SKIP_1) | instid1(VALU_DEP_1)
	v_fma_f64 v[2:3], -v[16:17], v[18:19], v[2:3]
	s_wait_loadcnt 0x1
	v_fma_f64 v[2:3], -v[4:5], v[10:11], v[2:3]
	s_wait_loadcnt 0x0
	s_delay_alu instid0(VALU_DEP_1) | instskip(NEXT) | instid1(VALU_DEP_1)
	v_div_scale_f64 v[4:5], null, v[14:15], v[14:15], v[2:3]
	v_rcp_f64_e32 v[6:7], v[4:5]
	v_nop
	s_delay_alu instid0(TRANS32_DEP_1) | instskip(NEXT) | instid1(VALU_DEP_1)
	v_fma_f64 v[8:9], -v[4:5], v[6:7], 1.0
	v_fmac_f64_e32 v[6:7], v[6:7], v[8:9]
	s_delay_alu instid0(VALU_DEP_1) | instskip(NEXT) | instid1(VALU_DEP_1)
	v_fma_f64 v[8:9], -v[4:5], v[6:7], 1.0
	v_fmac_f64_e32 v[6:7], v[6:7], v[8:9]
	v_div_scale_f64 v[8:9], vcc_lo, v[2:3], v[14:15], v[2:3]
	s_delay_alu instid0(VALU_DEP_1) | instskip(NEXT) | instid1(VALU_DEP_1)
	v_mul_f64_e32 v[10:11], v[8:9], v[6:7]
	v_fma_f64 v[4:5], -v[4:5], v[10:11], v[8:9]
	s_delay_alu instid0(VALU_DEP_1) | instskip(NEXT) | instid1(VALU_DEP_1)
	v_div_fmas_f64 v[4:5], v[4:5], v[6:7], v[10:11]
	v_div_fixup_f64 v[2:3], v[4:5], v[14:15], v[2:3]
	global_store_b64 v24, v[12:13], s[14:15] scale_offset
	global_store_b64 v1, v[2:3], s[2:3] scale_offset
	s_cbranch_scc1 .LBB5_7
; %bb.5:
	s_add_co_i32 s4, s16, -5
	s_add_co_i32 s0, s16, -4
	;; [unrolled: 1-line block ×3, first 2 shown]
	s_wait_xcnt 0x0
	v_mad_u32 v1, s17, s4, v0
	v_mad_u32 v2, s18, s0, v0
	;; [unrolled: 1-line block ×5, first 2 shown]
	v_add_nc_u32_e32 v0, s1, v0
.LBB5_6:                                ; =>This Inner Loop Header: Depth=1
	s_wait_xcnt 0x0
	s_delay_alu instid0(VALU_DEP_2)
	v_dual_add_nc_u32 v26, s19, v5 :: v_dual_add_nc_u32 v12, s19, v2
	v_dual_add_nc_u32 v16, s19, v3 :: v_dual_add_nc_u32 v27, s19, v1
	v_subrev_nc_u32_e32 v1, s17, v1
	s_clause 0x1
	global_load_b64 v[6:7], v26, s[2:3] scale_offset
	global_load_b64 v[8:9], v26, s[8:9] scale_offset
	;; [unrolled: 1-line block ×5, first 2 shown]
	v_add_nc_u32_e32 v20, s19, v4
	v_subrev_nc_u32_e32 v2, s18, v2
	v_subrev_nc_u32_e32 v3, s18, v3
	;; [unrolled: 1-line block ×4, first 2 shown]
	s_add_co_i32 s0, s0, -1
	s_delay_alu instid0(SALU_CYCLE_1)
	s_cmp_lg_u32 s0, 0
	s_wait_loadcnt 0x2
	v_fma_f64 v[6:7], -v[8:9], v[10:11], v[6:7]
	global_load_b64 v[16:17], v27, s[12:13] scale_offset
	global_load_b64 v[18:19], v20, s[2:3] scale_offset
	v_add_nc_u32_e32 v28, s19, v0
	v_subrev_nc_u32_e32 v0, s18, v0
	s_wait_loadcnt 0x2
	v_fma_f64 v[6:7], -v[12:13], v[14:15], v[6:7]
	global_load_b64 v[20:21], v27, s[14:15] scale_offset
	global_load_b64 v[22:23], v28, s[2:3] scale_offset
	;; [unrolled: 1-line block ×3, first 2 shown]
	s_wait_loadcnt 0x3
	v_fma_f64 v[6:7], -v[16:17], v[18:19], v[6:7]
	s_wait_loadcnt 0x1
	s_delay_alu instid0(VALU_DEP_1) | instskip(SKIP_1) | instid1(VALU_DEP_1)
	v_fma_f64 v[6:7], -v[20:21], v[22:23], v[6:7]
	s_wait_loadcnt 0x0
	v_div_scale_f64 v[8:9], null, v[24:25], v[24:25], v[6:7]
	v_div_scale_f64 v[14:15], vcc_lo, v[6:7], v[24:25], v[6:7]
	s_delay_alu instid0(VALU_DEP_2) | instskip(SKIP_1) | instid1(TRANS32_DEP_1)
	v_rcp_f64_e32 v[10:11], v[8:9]
	v_nop
	v_fma_f64 v[12:13], -v[8:9], v[10:11], 1.0
	s_delay_alu instid0(VALU_DEP_1) | instskip(NEXT) | instid1(VALU_DEP_1)
	v_fmac_f64_e32 v[10:11], v[10:11], v[12:13]
	v_fma_f64 v[12:13], -v[8:9], v[10:11], 1.0
	s_delay_alu instid0(VALU_DEP_1) | instskip(NEXT) | instid1(VALU_DEP_1)
	v_fmac_f64_e32 v[10:11], v[10:11], v[12:13]
	v_mul_f64_e32 v[12:13], v[14:15], v[10:11]
	s_delay_alu instid0(VALU_DEP_1) | instskip(NEXT) | instid1(VALU_DEP_1)
	v_fma_f64 v[8:9], -v[8:9], v[12:13], v[14:15]
	v_div_fmas_f64 v[8:9], v[8:9], v[10:11], v[12:13]
	s_delay_alu instid0(VALU_DEP_1)
	v_div_fixup_f64 v[6:7], v[8:9], v[24:25], v[6:7]
	global_store_b64 v26, v[6:7], s[2:3] scale_offset
	s_cbranch_scc1 .LBB5_6
.LBB5_7:
	s_endpgm
	.section	.rodata,"a",@progbits
	.p2align	6, 0x0
	.amdhsa_kernel _ZN9rocsparseL39gpsv_interleaved_batch_givens_qr_kernelILj128EdEEviiiPT0_S2_S2_S2_S2_S2_S2_S2_
		.amdhsa_group_segment_fixed_size 0
		.amdhsa_private_segment_fixed_size 0
		.amdhsa_kernarg_size 80
		.amdhsa_user_sgpr_count 2
		.amdhsa_user_sgpr_dispatch_ptr 0
		.amdhsa_user_sgpr_queue_ptr 0
		.amdhsa_user_sgpr_kernarg_segment_ptr 1
		.amdhsa_user_sgpr_dispatch_id 0
		.amdhsa_user_sgpr_kernarg_preload_length 0
		.amdhsa_user_sgpr_kernarg_preload_offset 0
		.amdhsa_user_sgpr_private_segment_size 0
		.amdhsa_wavefront_size32 1
		.amdhsa_uses_dynamic_stack 0
		.amdhsa_enable_private_segment 0
		.amdhsa_system_sgpr_workgroup_id_x 1
		.amdhsa_system_sgpr_workgroup_id_y 0
		.amdhsa_system_sgpr_workgroup_id_z 0
		.amdhsa_system_sgpr_workgroup_info 0
		.amdhsa_system_vgpr_workitem_id 0
		.amdhsa_next_free_vgpr 55
		.amdhsa_next_free_sgpr 24
		.amdhsa_named_barrier_count 0
		.amdhsa_reserve_vcc 1
		.amdhsa_float_round_mode_32 0
		.amdhsa_float_round_mode_16_64 0
		.amdhsa_float_denorm_mode_32 3
		.amdhsa_float_denorm_mode_16_64 3
		.amdhsa_fp16_overflow 0
		.amdhsa_memory_ordered 1
		.amdhsa_forward_progress 1
		.amdhsa_inst_pref_size 29
		.amdhsa_round_robin_scheduling 0
		.amdhsa_exception_fp_ieee_invalid_op 0
		.amdhsa_exception_fp_denorm_src 0
		.amdhsa_exception_fp_ieee_div_zero 0
		.amdhsa_exception_fp_ieee_overflow 0
		.amdhsa_exception_fp_ieee_underflow 0
		.amdhsa_exception_fp_ieee_inexact 0
		.amdhsa_exception_int_div_zero 0
	.end_amdhsa_kernel
	.section	.text._ZN9rocsparseL39gpsv_interleaved_batch_givens_qr_kernelILj128EdEEviiiPT0_S2_S2_S2_S2_S2_S2_S2_,"axG",@progbits,_ZN9rocsparseL39gpsv_interleaved_batch_givens_qr_kernelILj128EdEEviiiPT0_S2_S2_S2_S2_S2_S2_S2_,comdat
.Lfunc_end5:
	.size	_ZN9rocsparseL39gpsv_interleaved_batch_givens_qr_kernelILj128EdEEviiiPT0_S2_S2_S2_S2_S2_S2_S2_, .Lfunc_end5-_ZN9rocsparseL39gpsv_interleaved_batch_givens_qr_kernelILj128EdEEviiiPT0_S2_S2_S2_S2_S2_S2_S2_
                                        ; -- End function
	.set _ZN9rocsparseL39gpsv_interleaved_batch_givens_qr_kernelILj128EdEEviiiPT0_S2_S2_S2_S2_S2_S2_S2_.num_vgpr, 55
	.set _ZN9rocsparseL39gpsv_interleaved_batch_givens_qr_kernelILj128EdEEviiiPT0_S2_S2_S2_S2_S2_S2_S2_.num_agpr, 0
	.set _ZN9rocsparseL39gpsv_interleaved_batch_givens_qr_kernelILj128EdEEviiiPT0_S2_S2_S2_S2_S2_S2_S2_.numbered_sgpr, 24
	.set _ZN9rocsparseL39gpsv_interleaved_batch_givens_qr_kernelILj128EdEEviiiPT0_S2_S2_S2_S2_S2_S2_S2_.num_named_barrier, 0
	.set _ZN9rocsparseL39gpsv_interleaved_batch_givens_qr_kernelILj128EdEEviiiPT0_S2_S2_S2_S2_S2_S2_S2_.private_seg_size, 0
	.set _ZN9rocsparseL39gpsv_interleaved_batch_givens_qr_kernelILj128EdEEviiiPT0_S2_S2_S2_S2_S2_S2_S2_.uses_vcc, 1
	.set _ZN9rocsparseL39gpsv_interleaved_batch_givens_qr_kernelILj128EdEEviiiPT0_S2_S2_S2_S2_S2_S2_S2_.uses_flat_scratch, 0
	.set _ZN9rocsparseL39gpsv_interleaved_batch_givens_qr_kernelILj128EdEEviiiPT0_S2_S2_S2_S2_S2_S2_S2_.has_dyn_sized_stack, 0
	.set _ZN9rocsparseL39gpsv_interleaved_batch_givens_qr_kernelILj128EdEEviiiPT0_S2_S2_S2_S2_S2_S2_S2_.has_recursion, 0
	.set _ZN9rocsparseL39gpsv_interleaved_batch_givens_qr_kernelILj128EdEEviiiPT0_S2_S2_S2_S2_S2_S2_S2_.has_indirect_call, 0
	.section	.AMDGPU.csdata,"",@progbits
; Kernel info:
; codeLenInByte = 3612
; TotalNumSgprs: 26
; NumVgprs: 55
; ScratchSize: 0
; MemoryBound: 0
; FloatMode: 240
; IeeeMode: 1
; LDSByteSize: 0 bytes/workgroup (compile time only)
; SGPRBlocks: 0
; VGPRBlocks: 3
; NumSGPRsForWavesPerEU: 26
; NumVGPRsForWavesPerEU: 55
; NamedBarCnt: 0
; Occupancy: 16
; WaveLimiterHint : 0
; COMPUTE_PGM_RSRC2:SCRATCH_EN: 0
; COMPUTE_PGM_RSRC2:USER_SGPR: 2
; COMPUTE_PGM_RSRC2:TRAP_HANDLER: 0
; COMPUTE_PGM_RSRC2:TGID_X_EN: 1
; COMPUTE_PGM_RSRC2:TGID_Y_EN: 0
; COMPUTE_PGM_RSRC2:TGID_Z_EN: 0
; COMPUTE_PGM_RSRC2:TIDIG_COMP_CNT: 0
	.section	.text._ZN9rocsparseL19gpsv_strided_gatherILj256E21rocsparse_complex_numIfEEEviiiPKT0_PS3_,"axG",@progbits,_ZN9rocsparseL19gpsv_strided_gatherILj256E21rocsparse_complex_numIfEEEviiiPKT0_PS3_,comdat
	.globl	_ZN9rocsparseL19gpsv_strided_gatherILj256E21rocsparse_complex_numIfEEEviiiPKT0_PS3_ ; -- Begin function _ZN9rocsparseL19gpsv_strided_gatherILj256E21rocsparse_complex_numIfEEEviiiPKT0_PS3_
	.p2align	8
	.type	_ZN9rocsparseL19gpsv_strided_gatherILj256E21rocsparse_complex_numIfEEEviiiPKT0_PS3_,@function
_ZN9rocsparseL19gpsv_strided_gatherILj256E21rocsparse_complex_numIfEEEviiiPKT0_PS3_: ; @_ZN9rocsparseL19gpsv_strided_gatherILj256E21rocsparse_complex_numIfEEEviiiPKT0_PS3_
; %bb.0:
	s_clause 0x1
	s_load_b32 s2, s[0:1], 0x2c
	s_load_b96 s[4:6], s[0:1], 0x0
	s_bfe_u32 s3, ttmp6, 0x4000c
	s_and_b32 s7, ttmp6, 15
	s_add_co_i32 s3, s3, 1
	s_getreg_b32 s8, hwreg(HW_REG_IB_STS2, 6, 4)
	s_mul_i32 s3, ttmp9, s3
	s_delay_alu instid0(SALU_CYCLE_1)
	s_add_co_i32 s7, s7, s3
	s_wait_kmcnt 0x0
	s_and_b32 s2, s2, 0xffff
	s_cmp_eq_u32 s8, 0
	s_cselect_b32 s3, ttmp9, s7
	s_cmp_gt_i32 s4, 0
	v_mad_u32 v0, s3, s2, v0
	s_cselect_b32 s2, -1, 0
	s_delay_alu instid0(VALU_DEP_1) | instskip(SKIP_1) | instid1(SALU_CYCLE_1)
	v_cmp_gt_i32_e32 vcc_lo, s5, v0
	s_and_b32 s2, vcc_lo, s2
	s_and_saveexec_b32 s3, s2
	s_cbranch_execz .LBB6_3
; %bb.1:
	s_load_b128 s[0:3], s[0:1], 0x10
	v_mov_b32_e32 v1, v0
.LBB6_2:                                ; =>This Inner Loop Header: Depth=1
	s_wait_kmcnt 0x0
	global_load_b64 v[2:3], v0, s[0:1] scale_offset
	s_wait_xcnt 0x0
	v_add_nc_u32_e32 v0, s6, v0
	s_add_co_i32 s4, s4, -1
	s_delay_alu instid0(SALU_CYCLE_1)
	s_cmp_lg_u32 s4, 0
	s_wait_loadcnt 0x0
	global_store_b64 v1, v[2:3], s[2:3] scale_offset
	s_wait_xcnt 0x0
	v_add_nc_u32_e32 v1, s5, v1
	s_cbranch_scc1 .LBB6_2
.LBB6_3:
	s_endpgm
	.section	.rodata,"a",@progbits
	.p2align	6, 0x0
	.amdhsa_kernel _ZN9rocsparseL19gpsv_strided_gatherILj256E21rocsparse_complex_numIfEEEviiiPKT0_PS3_
		.amdhsa_group_segment_fixed_size 0
		.amdhsa_private_segment_fixed_size 0
		.amdhsa_kernarg_size 288
		.amdhsa_user_sgpr_count 2
		.amdhsa_user_sgpr_dispatch_ptr 0
		.amdhsa_user_sgpr_queue_ptr 0
		.amdhsa_user_sgpr_kernarg_segment_ptr 1
		.amdhsa_user_sgpr_dispatch_id 0
		.amdhsa_user_sgpr_kernarg_preload_length 0
		.amdhsa_user_sgpr_kernarg_preload_offset 0
		.amdhsa_user_sgpr_private_segment_size 0
		.amdhsa_wavefront_size32 1
		.amdhsa_uses_dynamic_stack 0
		.amdhsa_enable_private_segment 0
		.amdhsa_system_sgpr_workgroup_id_x 1
		.amdhsa_system_sgpr_workgroup_id_y 0
		.amdhsa_system_sgpr_workgroup_id_z 0
		.amdhsa_system_sgpr_workgroup_info 0
		.amdhsa_system_vgpr_workitem_id 0
		.amdhsa_next_free_vgpr 4
		.amdhsa_next_free_sgpr 9
		.amdhsa_named_barrier_count 0
		.amdhsa_reserve_vcc 1
		.amdhsa_float_round_mode_32 0
		.amdhsa_float_round_mode_16_64 0
		.amdhsa_float_denorm_mode_32 3
		.amdhsa_float_denorm_mode_16_64 3
		.amdhsa_fp16_overflow 0
		.amdhsa_memory_ordered 1
		.amdhsa_forward_progress 1
		.amdhsa_inst_pref_size 2
		.amdhsa_round_robin_scheduling 0
		.amdhsa_exception_fp_ieee_invalid_op 0
		.amdhsa_exception_fp_denorm_src 0
		.amdhsa_exception_fp_ieee_div_zero 0
		.amdhsa_exception_fp_ieee_overflow 0
		.amdhsa_exception_fp_ieee_underflow 0
		.amdhsa_exception_fp_ieee_inexact 0
		.amdhsa_exception_int_div_zero 0
	.end_amdhsa_kernel
	.section	.text._ZN9rocsparseL19gpsv_strided_gatherILj256E21rocsparse_complex_numIfEEEviiiPKT0_PS3_,"axG",@progbits,_ZN9rocsparseL19gpsv_strided_gatherILj256E21rocsparse_complex_numIfEEEviiiPKT0_PS3_,comdat
.Lfunc_end6:
	.size	_ZN9rocsparseL19gpsv_strided_gatherILj256E21rocsparse_complex_numIfEEEviiiPKT0_PS3_, .Lfunc_end6-_ZN9rocsparseL19gpsv_strided_gatherILj256E21rocsparse_complex_numIfEEEviiiPKT0_PS3_
                                        ; -- End function
	.set _ZN9rocsparseL19gpsv_strided_gatherILj256E21rocsparse_complex_numIfEEEviiiPKT0_PS3_.num_vgpr, 4
	.set _ZN9rocsparseL19gpsv_strided_gatherILj256E21rocsparse_complex_numIfEEEviiiPKT0_PS3_.num_agpr, 0
	.set _ZN9rocsparseL19gpsv_strided_gatherILj256E21rocsparse_complex_numIfEEEviiiPKT0_PS3_.numbered_sgpr, 9
	.set _ZN9rocsparseL19gpsv_strided_gatherILj256E21rocsparse_complex_numIfEEEviiiPKT0_PS3_.num_named_barrier, 0
	.set _ZN9rocsparseL19gpsv_strided_gatherILj256E21rocsparse_complex_numIfEEEviiiPKT0_PS3_.private_seg_size, 0
	.set _ZN9rocsparseL19gpsv_strided_gatherILj256E21rocsparse_complex_numIfEEEviiiPKT0_PS3_.uses_vcc, 1
	.set _ZN9rocsparseL19gpsv_strided_gatherILj256E21rocsparse_complex_numIfEEEviiiPKT0_PS3_.uses_flat_scratch, 0
	.set _ZN9rocsparseL19gpsv_strided_gatherILj256E21rocsparse_complex_numIfEEEviiiPKT0_PS3_.has_dyn_sized_stack, 0
	.set _ZN9rocsparseL19gpsv_strided_gatherILj256E21rocsparse_complex_numIfEEEviiiPKT0_PS3_.has_recursion, 0
	.set _ZN9rocsparseL19gpsv_strided_gatherILj256E21rocsparse_complex_numIfEEEviiiPKT0_PS3_.has_indirect_call, 0
	.section	.AMDGPU.csdata,"",@progbits
; Kernel info:
; codeLenInByte = 188
; TotalNumSgprs: 11
; NumVgprs: 4
; ScratchSize: 0
; MemoryBound: 0
; FloatMode: 240
; IeeeMode: 1
; LDSByteSize: 0 bytes/workgroup (compile time only)
; SGPRBlocks: 0
; VGPRBlocks: 0
; NumSGPRsForWavesPerEU: 11
; NumVGPRsForWavesPerEU: 4
; NamedBarCnt: 0
; Occupancy: 16
; WaveLimiterHint : 0
; COMPUTE_PGM_RSRC2:SCRATCH_EN: 0
; COMPUTE_PGM_RSRC2:USER_SGPR: 2
; COMPUTE_PGM_RSRC2:TRAP_HANDLER: 0
; COMPUTE_PGM_RSRC2:TGID_X_EN: 1
; COMPUTE_PGM_RSRC2:TGID_Y_EN: 0
; COMPUTE_PGM_RSRC2:TGID_Z_EN: 0
; COMPUTE_PGM_RSRC2:TIDIG_COMP_CNT: 0
	.section	.text._ZN9rocsparseL44gpsv_interleaved_batch_householder_qr_kernelILj256E21rocsparse_complex_numIfEEEviiiPT0_S4_S4_S4_S4_S4_S4_S4_S4_,"axG",@progbits,_ZN9rocsparseL44gpsv_interleaved_batch_householder_qr_kernelILj256E21rocsparse_complex_numIfEEEviiiPT0_S4_S4_S4_S4_S4_S4_S4_S4_,comdat
	.globl	_ZN9rocsparseL44gpsv_interleaved_batch_householder_qr_kernelILj256E21rocsparse_complex_numIfEEEviiiPT0_S4_S4_S4_S4_S4_S4_S4_S4_ ; -- Begin function _ZN9rocsparseL44gpsv_interleaved_batch_householder_qr_kernelILj256E21rocsparse_complex_numIfEEEviiiPT0_S4_S4_S4_S4_S4_S4_S4_S4_
	.p2align	8
	.type	_ZN9rocsparseL44gpsv_interleaved_batch_householder_qr_kernelILj256E21rocsparse_complex_numIfEEEviiiPT0_S4_S4_S4_S4_S4_S4_S4_S4_,@function
_ZN9rocsparseL44gpsv_interleaved_batch_householder_qr_kernelILj256E21rocsparse_complex_numIfEEEviiiPT0_S4_S4_S4_S4_S4_S4_S4_S4_: ; @_ZN9rocsparseL44gpsv_interleaved_batch_householder_qr_kernelILj256E21rocsparse_complex_numIfEEEviiiPT0_S4_S4_S4_S4_S4_S4_S4_S4_
; %bb.0:
	s_clause 0x1
	s_load_b32 s2, s[0:1], 0x64
	s_load_b96 s[16:18], s[0:1], 0x0
	s_bfe_u32 s3, ttmp6, 0x4000c
	s_and_b32 s4, ttmp6, 15
	s_add_co_i32 s3, s3, 1
	s_getreg_b32 s5, hwreg(HW_REG_IB_STS2, 6, 4)
	s_mul_i32 s3, ttmp9, s3
	s_delay_alu instid0(SALU_CYCLE_1) | instskip(SKIP_4) | instid1(SALU_CYCLE_1)
	s_add_co_i32 s4, s4, s3
	s_wait_kmcnt 0x0
	s_and_b32 s2, s2, 0xffff
	s_cmp_eq_u32 s5, 0
	s_cselect_b32 s5, ttmp9, s4
	s_mul_i32 s5, s5, s2
	s_mov_b32 s2, exec_lo
	v_add_nc_u32_e32 v1, s5, v0
	s_delay_alu instid0(VALU_DEP_1)
	v_cmpx_gt_i32_e64 s17, v1
	s_cbranch_execz .LBB7_36
; %bb.1:
	s_clause 0x3
	s_load_b64 s[6:7], s[0:1], 0x50
	s_load_b128 s[8:11], s[0:1], 0x40
	s_load_b128 s[12:15], s[0:1], 0x20
	s_load_b64 s[20:21], s[0:1], 0x30
	s_cmp_lt_i32 s16, 2
	s_cbranch_scc1 .LBB7_23
; %bb.2:
	s_load_b64 s[22:23], s[0:1], 0x18
	s_add_co_i32 s19, s16, -2
	s_mov_b32 s3, 0
	s_cmp_eq_u32 s19, 0
	s_cbranch_scc1 .LBB7_14
; %bb.3:
	s_load_b64 s[24:25], s[0:1], 0x10
	v_dual_add_nc_u32 v58, s17, v0 :: v_dual_add_nc_u32 v61, s18, v0
	v_lshl_add_u32 v59, s17, 1, v0
	v_lshl_add_u32 v60, s18, 1, v0
	v_dual_mov_b32 v62, v0 :: v_dual_mov_b32 v63, v0
	s_mov_b32 s26, 0
	s_branch .LBB7_6
.LBB7_4:                                ;   in Loop: Header=BB7_6 Depth=1
	s_or_b32 exec_lo, exec_lo, s3
	s_delay_alu instid0(VALU_DEP_1) | instskip(SKIP_2) | instid1(VALU_DEP_3)
	v_dual_sub_f32 v31, v43, v56 :: v_dual_add_f32 v33, v56, v43
	v_lshl_add_u64 v[28:29], v[28:29], 3, s[22:23]
	v_lshl_add_u64 v[26:27], v[26:27], 3, s[24:25]
	v_dual_mul_f32 v31, 0.5, v31 :: v_dual_mul_f32 v33, 0.5, v33
	s_delay_alu instid0(VALU_DEP_1) | instskip(SKIP_1) | instid1(VALU_DEP_3)
	v_mul_f32_e32 v43, 0x4f800000, v31
	v_cmp_gt_f32_e32 vcc_lo, 0xf800000, v31
	v_cmp_gt_f32_e64 s2, 0xf800000, v33
	s_delay_alu instid0(VALU_DEP_3) | instskip(SKIP_1) | instid1(VALU_DEP_1)
	v_cndmask_b32_e32 v31, v31, v43, vcc_lo
	v_mul_f32_e32 v43, 0x4f800000, v33
	v_cndmask_b32_e64 v33, v33, v43, s2
	s_delay_alu instid0(VALU_DEP_3) | instskip(NEXT) | instid1(VALU_DEP_1)
	v_sqrt_f32_e32 v56, v31
	v_sqrt_f32_e32 v64, v33
	s_delay_alu instid0(TRANS32_DEP_2) | instskip(NEXT) | instid1(VALU_DEP_1)
	v_dual_add_nc_u32 v43, -1, v56 :: v_dual_add_nc_u32 v65, 1, v56
	v_dual_fma_f32 v66, -v43, v56, v31 :: v_dual_fma_f32 v68, -v65, v56, v31
	s_delay_alu instid0(VALU_DEP_1) | instskip(NEXT) | instid1(TRANS32_DEP_1)
	v_cmp_ge_f32_e64 s3, 0, v66
	v_dual_add_nc_u32 v67, -1, v64 :: v_dual_add_nc_u32 v66, 1, v64
	s_delay_alu instid0(VALU_DEP_3) | instskip(NEXT) | instid1(VALU_DEP_2)
	v_cmp_lt_f32_e64 s4, 0, v68
	v_dual_cndmask_b32 v43, v56, v43, s3 :: v_dual_fma_f32 v69, -v67, v64, v33
	s_delay_alu instid0(VALU_DEP_3) | instskip(NEXT) | instid1(VALU_DEP_2)
	v_fma_f32 v56, -v66, v64, v33
	v_cmp_ge_f32_e64 s3, 0, v69
	s_delay_alu instid0(VALU_DEP_3) | instskip(NEXT) | instid1(VALU_DEP_3)
	v_cndmask_b32_e64 v43, v43, v65, s4
	v_cmp_lt_f32_e64 s4, 0, v56
	s_delay_alu instid0(VALU_DEP_3) | instskip(SKIP_1) | instid1(VALU_DEP_2)
	v_cndmask_b32_e64 v56, v64, v67, s3
	v_cmp_class_f32_e64 s3, v31, 0x260
	v_cndmask_b32_e64 v56, v56, v66, s4
	v_mul_f32_e32 v64, 0x37800000, v43
	v_cmp_class_f32_e64 s4, v33, 0x260
	s_delay_alu instid0(VALU_DEP_2) | instskip(SKIP_2) | instid1(VALU_DEP_3)
	v_cndmask_b32_e32 v43, v43, v64, vcc_lo
	v_cmp_gt_f32_e32 vcc_lo, 0, v57
	v_mul_f32_e32 v57, 0x37800000, v56
	v_cndmask_b32_e64 v31, v43, v31, s3
	v_cmp_lt_f32_e64 s3, 0, v44
	s_delay_alu instid0(VALU_DEP_3) | instskip(NEXT) | instid1(VALU_DEP_1)
	v_cndmask_b32_e64 v43, v56, v57, s2
	v_cndmask_b32_e64 v33, v43, v33, s4
	s_delay_alu instid0(VALU_DEP_1) | instskip(NEXT) | instid1(VALU_DEP_1)
	v_dual_cndmask_b32 v31, v31, -v31, vcc_lo :: v_dual_cndmask_b32 v33, -v33, v33, s3
	v_dual_cndmask_b32 v31, -v31, v31, s3 :: v_dual_add_f32 v64, v44, v33
	s_delay_alu instid0(VALU_DEP_1) | instskip(NEXT) | instid1(VALU_DEP_1)
	v_add_f32_e32 v56, v45, v31
	v_mul_f32_e32 v31, v56, v56
	s_delay_alu instid0(VALU_DEP_3) | instskip(NEXT) | instid1(VALU_DEP_1)
	v_mul_f32_e32 v66, v64, v56
	v_fmac_f32_e32 v66, v56, v64
	s_delay_alu instid0(VALU_DEP_1) | instskip(NEXT) | instid1(VALU_DEP_1)
	v_dual_fmac_f32 v31, v64, v64 :: v_dual_add_f32 v68, v55, v66
	v_div_scale_f32 v33, null, v31, v31, 1.0
	v_div_scale_f32 v65, vcc_lo, 1.0, v31, 1.0
	s_delay_alu instid0(VALU_DEP_2) | instskip(SKIP_1) | instid1(TRANS32_DEP_1)
	v_rcp_f32_e32 v43, v33
	v_nop
	v_fma_f32 v57, -v33, v43, 1.0
	s_delay_alu instid0(VALU_DEP_1) | instskip(NEXT) | instid1(VALU_DEP_1)
	v_dual_fmac_f32 v43, v57, v43 :: v_dual_mul_f32 v67, v56, -v56
	v_dual_mul_f32 v55, v65, v43 :: v_dual_fmac_f32 v67, v64, v64
	s_delay_alu instid0(VALU_DEP_1) | instskip(NEXT) | instid1(VALU_DEP_2)
	v_add_f32_e32 v69, v54, v67
	v_dual_fma_f32 v54, -v33, v55, v65 :: v_dual_mul_f32 v70, v68, v68
	s_delay_alu instid0(VALU_DEP_1) | instskip(NEXT) | instid1(VALU_DEP_1)
	v_dual_fmac_f32 v55, v54, v43 :: v_dual_fmac_f32 v70, v69, v69
	v_fma_f32 v33, -v33, v55, v65
	s_delay_alu instid0(VALU_DEP_2) | instskip(NEXT) | instid1(VALU_DEP_2)
	v_div_scale_f32 v71, null, v70, v70, 1.0
	v_div_fmas_f32 v33, v33, v43, v55
	v_pk_mul_f32 v[54:55], v[56:57], v[50:51] op_sel:[0,1] op_sel_hi:[0,0] neg_hi:[0,1]
	s_delay_alu instid0(VALU_DEP_3) | instskip(SKIP_1) | instid1(VALU_DEP_2)
	v_rcp_f32_e32 v72, v71
	v_pk_mul_f32 v[56:57], v[52:53], v[56:57] op_sel:[1,0] op_sel_hi:[0,0] neg_hi:[1,0]
	v_pk_fma_f32 v[54:55], v[50:51], v[64:65], v[54:55] op_sel_hi:[1,0,1]
	v_div_fixup_f32 v50, v33, v31, 1.0
	s_delay_alu instid0(VALU_DEP_3) | instskip(NEXT) | instid1(TRANS32_DEP_1)
	v_pk_fma_f32 v[56:57], v[52:53], v[64:65], v[56:57] op_sel_hi:[1,0,1]
	v_fma_f32 v43, -v71, v72, 1.0
	v_dual_mov_b32 v52, v53 :: v_dual_mov_b32 v65, v51
	s_delay_alu instid0(VALU_DEP_4) | instskip(SKIP_1) | instid1(VALU_DEP_4)
	v_pk_mul_f32 v[54:55], v[54:55], v[50:51] op_sel_hi:[1,0]
	v_mov_b32_e32 v64, v51
	v_fmac_f32_e32 v72, v43, v72
	v_div_scale_f32 v31, vcc_lo, 1.0, v70, 1.0
	s_delay_alu instid0(VALU_DEP_4) | instskip(SKIP_2) | instid1(VALU_DEP_4)
	v_fma_f32 v73, v55, v54, 0
	v_pk_mul_f32 v[50:51], v[56:57], v[50:51] op_sel_hi:[1,0]
	v_fma_f32 v56, v54, v54, 1.0
	v_mul_f32_e32 v33, v31, v72
	v_pk_fma_f32 v[48:49], v[54:55], v[48:49], v[44:45]
	v_fmac_f32_e32 v73, v54, v55
	s_delay_alu instid0(VALU_DEP_2) | instskip(NEXT) | instid1(VALU_DEP_2)
	v_pk_fma_f32 v[48:49], v[54:55], v[64:65], v[48:49] op_sel:[1,0,0] op_sel_hi:[0,1,1] neg_lo:[1,0,0]
	v_fmac_f32_e32 v73, v51, v50
	s_delay_alu instid0(VALU_DEP_2) | instskip(NEXT) | instid1(VALU_DEP_2)
	v_pk_fma_f32 v[46:47], v[50:51], v[46:47], v[48:49]
	v_fmac_f32_e32 v73, v50, v51
	v_fma_f32 v56, -v55, v55, v56
	s_delay_alu instid0(VALU_DEP_3) | instskip(NEXT) | instid1(VALU_DEP_3)
	v_pk_fma_f32 v[46:47], v[50:51], v[52:53], v[46:47] op_sel:[1,0,0] op_sel_hi:[0,1,1] neg_lo:[1,0,0]
	v_mul_f32_e32 v75, v73, v73
	s_delay_alu instid0(VALU_DEP_3) | instskip(NEXT) | instid1(VALU_DEP_1)
	v_dual_fma_f32 v43, -v71, v33, v31 :: v_dual_fmac_f32 v56, v50, v50
	v_dual_fmac_f32 v33, v43, v72 :: v_dual_add_f32 v43, v66, v66
	s_delay_alu instid0(VALU_DEP_1) | instskip(NEXT) | instid1(VALU_DEP_3)
	v_fma_f32 v31, -v71, v33, v31
	v_fma_f32 v71, -v51, v51, v56
	s_delay_alu instid0(VALU_DEP_3) | instskip(NEXT) | instid1(VALU_DEP_3)
	v_dual_mul_f32 v66, 0x80000000, v66 :: v_dual_fmac_f32 v43, 0, v67
	v_div_fmas_f32 v31, v31, v72, v33
	s_delay_alu instid0(VALU_DEP_3) | instskip(NEXT) | instid1(VALU_DEP_3)
	v_fmac_f32_e32 v75, v71, v71
	v_fmac_f32_e32 v66, 2.0, v67
	v_add_nc_u32_e32 v74, s5, v63
	v_mul_f32_e32 v64, v68, v43
	v_div_fixup_f32 v31, v31, v70, 1.0
	v_div_scale_f32 v72, null, v75, v75, 1.0
	v_mul_f32_e64 v33, v68, -v66
	global_load_b64 v[56:57], v74, s[6:7] scale_offset
	v_rcp_f32_e32 v49, v72
	v_dual_fmac_f32 v33, v43, v69 :: v_dual_ashrrev_i32 v43, 31, v42
	s_delay_alu instid0(VALU_DEP_1) | instskip(NEXT) | instid1(TRANS32_DEP_1)
	v_dual_fmac_f32 v64, v66, v69 :: v_dual_mul_f32 v48, v33, v31
	v_fma_f32 v33, -v72, v49, 1.0
	s_delay_alu instid0(VALU_DEP_2) | instskip(SKIP_1) | instid1(VALU_DEP_4)
	v_mul_f32_e32 v52, v31, v64
	v_div_scale_f32 v31, vcc_lo, 1.0, v75, 1.0
	v_pk_mul_f32 v[64:65], v[48:49], v[46:47] op_sel:[0,1] op_sel_hi:[0,0] neg_lo:[0,1]
	s_delay_alu instid0(VALU_DEP_4) | instskip(NEXT) | instid1(VALU_DEP_2)
	v_fmac_f32_e32 v49, v33, v49
	v_pk_fma_f32 v[46:47], v[46:47], v[52:53], v[64:65] op_sel_hi:[1,0,1]
	s_delay_alu instid0(VALU_DEP_2) | instskip(SKIP_2) | instid1(VALU_DEP_4)
	v_dual_mul_f32 v53, v31, v49 :: v_dual_ashrrev_i32 v33, 31, v32
	v_lshl_add_u64 v[64:65], v[42:43], 3, s[12:13]
	v_lshlrev_b64_e32 v[42:43], 3, v[42:43]
	v_pk_add_f32 v[44:45], v[44:45], v[46:47] neg_lo:[0,1] neg_hi:[0,1]
	s_delay_alu instid0(VALU_DEP_4)
	v_fma_f32 v66, -v72, v53, v31
	v_lshl_add_u64 v[46:47], v[32:33], 3, s[8:9]
	v_lshl_add_u64 v[32:33], v[32:33], 3, s[6:7]
	global_store_b64 v[64:65], v[44:45], off
	s_clause 0x1
	global_load_b64 v[44:45], v74, s[8:9] scale_offset
	global_load_b64 v[64:65], v74, s[10:11] scale_offset
	v_fmac_f32_e32 v53, v66, v49
	global_load_b64 v[66:67], v[46:47], off
	global_store_b64 v[28:29], v[54:55], off
	global_store_b64 v[26:27], v[50:51], off
	v_fma_f32 v31, -v72, v53, v31
	s_delay_alu instid0(VALU_DEP_1) | instskip(SKIP_1) | instid1(VALU_DEP_2)
	v_div_fmas_f32 v31, v31, v49, v53
	v_dual_mul_f32 v49, -2.0, v73 :: v_dual_mul_f32 v53, 0, v73
	v_div_fixup_f32 v31, v31, v75, 1.0
	s_delay_alu instid0(VALU_DEP_2) | instskip(NEXT) | instid1(VALU_DEP_3)
	v_fmac_f32_e32 v49, 0, v71
	v_fmac_f32_e32 v53, 2.0, v71
	s_delay_alu instid0(VALU_DEP_2) | instskip(NEXT) | instid1(VALU_DEP_2)
	v_mul_f32_e32 v70, v49, v31
	v_dual_mul_f32 v72, v53, v31 :: v_dual_ashrrev_i32 v31, 31, v30
	s_delay_alu instid0(VALU_DEP_1) | instskip(SKIP_2) | instid1(VALU_DEP_1)
	v_lshl_add_u64 v[30:31], v[30:31], 3, s[6:7]
	s_wait_loadcnt 0x3
	v_pk_fma_f32 v[68:69], v[54:55], v[34:35], v[56:57] op_sel_hi:[1,0,1]
	v_pk_fma_f32 v[68:69], v[54:55], v[34:35], v[68:69] op_sel:[1,1,0] op_sel_hi:[0,1,1] neg_lo:[1,0,0]
	s_delay_alu instid0(VALU_DEP_1) | instskip(NEXT) | instid1(VALU_DEP_1)
	v_pk_fma_f32 v[68:69], v[50:51], v[36:37], v[68:69] op_sel_hi:[1,0,1]
	v_pk_fma_f32 v[68:69], v[50:51], v[36:37], v[68:69] op_sel:[1,1,0] op_sel_hi:[0,1,1] neg_lo:[1,0,0]
	s_delay_alu instid0(VALU_DEP_1) | instskip(NEXT) | instid1(VALU_DEP_1)
	v_pk_mul_f32 v[70:71], v[70:71], v[68:69] op_sel:[0,1] op_sel_hi:[0,0] neg_lo:[0,1]
	v_pk_fma_f32 v[68:69], v[68:69], v[72:73], v[70:71] op_sel_hi:[1,0,1]
	s_wait_loadcnt 0x2
	v_pk_fma_f32 v[70:71], v[54:55], v[38:39], v[44:45] op_sel_hi:[1,0,1]
	s_delay_alu instid0(VALU_DEP_2)
	v_pk_add_f32 v[56:57], v[56:57], v[68:69] neg_lo:[0,1] neg_hi:[0,1]
	v_pk_fma_f32 v[34:35], v[54:55], v[68:69], v[34:35] op_sel_hi:[1,0,1] neg_lo:[1,0,0] neg_hi:[1,0,0]
	s_wait_loadcnt 0x0
	v_pk_fma_f32 v[72:73], v[54:55], v[66:67], v[64:65] op_sel_hi:[1,0,1]
	v_pk_fma_f32 v[36:37], v[50:51], v[68:69], v[36:37] op_sel_hi:[1,0,1] neg_lo:[1,0,0] neg_hi:[1,0,0]
	v_pk_fma_f32 v[70:71], v[54:55], v[38:39], v[70:71] op_sel:[1,1,0] op_sel_hi:[0,1,1] neg_lo:[1,0,0]
	global_store_b64 v74, v[56:57], s[6:7] scale_offset
	v_pk_fma_f32 v[34:35], v[54:55], v[68:69], v[34:35] op_sel:[1,1,0] op_sel_hi:[0,1,1] neg_hi:[1,0,0]
	v_pk_fma_f32 v[66:67], v[54:55], v[66:67], v[72:73] op_sel:[1,1,0] op_sel_hi:[0,1,1] neg_lo:[1,0,0]
	v_add_nc_u64_e32 v[72:73], s[14:15], v[42:43]
	v_pk_fma_f32 v[70:71], v[50:51], v[40:41], v[70:71] op_sel_hi:[1,0,1]
	v_add_nc_u64_e32 v[42:43], s[20:21], v[42:43]
	v_pk_fma_f32 v[36:37], v[50:51], v[68:69], v[36:37] op_sel:[1,1,0] op_sel_hi:[0,1,1] neg_hi:[1,0,0]
	v_pk_fma_f32 v[66:67], v[50:51], v[24:25], v[66:67] op_sel_hi:[1,0,1]
	s_delay_alu instid0(VALU_DEP_4) | instskip(NEXT) | instid1(VALU_DEP_2)
	v_pk_fma_f32 v[70:71], v[50:51], v[40:41], v[70:71] op_sel:[1,1,0] op_sel_hi:[0,1,1] neg_lo:[1,0,0]
	v_pk_fma_f32 v[66:67], v[50:51], v[24:25], v[66:67] op_sel:[1,1,0] op_sel_hi:[0,1,1] neg_lo:[1,0,0]
	s_wait_xcnt 0x2
	s_delay_alu instid0(VALU_DEP_2) | instskip(SKIP_1) | instid1(VALU_DEP_2)
	v_pk_mul_f32 v[28:29], v[48:49], v[70:71] op_sel:[0,1] op_sel_hi:[0,0] neg_lo:[0,1]
	s_wait_xcnt 0x1
	v_pk_mul_f32 v[26:27], v[48:49], v[66:67] op_sel:[0,1] op_sel_hi:[0,0] neg_lo:[0,1]
	s_delay_alu instid0(VALU_DEP_2)
	v_pk_fma_f32 v[28:29], v[70:71], v[52:53], v[28:29] op_sel_hi:[1,0,1]
	global_load_b64 v[70:71], v[72:73], off
	v_pk_fma_f32 v[26:27], v[66:67], v[52:53], v[26:27] op_sel_hi:[1,0,1]
	global_load_b64 v[66:67], v[42:43], off
	v_pk_add_f32 v[44:45], v[44:45], v[28:29] neg_lo:[0,1] neg_hi:[0,1]
	v_pk_fma_f32 v[38:39], v[28:29], v[54:55], v[38:39] op_sel_hi:[1,0,1] neg_lo:[1,0,0] neg_hi:[1,0,0]
	v_pk_fma_f32 v[40:41], v[28:29], v[50:51], v[40:41] op_sel_hi:[1,0,1] neg_lo:[1,0,0] neg_hi:[1,0,0]
	v_pk_add_f32 v[64:65], v[64:65], v[26:27] neg_lo:[0,1] neg_hi:[0,1]
	v_pk_fma_f32 v[24:25], v[26:27], v[50:51], v[24:25] op_sel_hi:[1,0,1] neg_lo:[1,0,0] neg_hi:[1,0,0]
	s_clause 0x1
	global_store_b64 v74, v[44:45], s[8:9] scale_offset
	global_load_b64 v[44:45], v[46:47], off
	v_pk_fma_f32 v[38:39], v[28:29], v[54:55], v[38:39] op_sel:[1,1,0] op_sel_hi:[0,1,1] neg_hi:[1,0,0]
	v_pk_fma_f32 v[28:29], v[28:29], v[50:51], v[40:41] op_sel:[1,1,0] op_sel_hi:[0,1,1] neg_hi:[1,0,0]
	global_store_b64 v[32:33], v[34:35], off
	global_store_b64 v74, v[64:65], s[10:11] scale_offset
	v_pk_fma_f32 v[24:25], v[26:27], v[50:51], v[24:25] op_sel:[1,1,0] op_sel_hi:[0,1,1] neg_hi:[1,0,0]
	s_wait_loadcnt 0x2
	v_pk_fma_f32 v[56:57], v[54:55], v[18:19], v[70:71] op_sel_hi:[1,0,1]
	s_wait_loadcnt 0x1
	v_pk_fma_f32 v[40:41], v[54:55], v[16:17], v[66:67] op_sel_hi:[1,0,1]
	s_delay_alu instid0(VALU_DEP_2) | instskip(NEXT) | instid1(VALU_DEP_2)
	v_pk_fma_f32 v[56:57], v[54:55], v[18:19], v[56:57] op_sel:[1,1,0] op_sel_hi:[0,1,1] neg_lo:[1,0,0]
	v_pk_fma_f32 v[40:41], v[54:55], v[16:17], v[40:41] op_sel:[1,1,0] op_sel_hi:[0,1,1] neg_lo:[1,0,0]
	s_delay_alu instid0(VALU_DEP_2) | instskip(NEXT) | instid1(VALU_DEP_2)
	v_pk_fma_f32 v[56:57], v[50:51], v[22:23], v[56:57] op_sel_hi:[1,0,1]
	v_pk_fma_f32 v[40:41], v[50:51], v[20:21], v[40:41] op_sel_hi:[1,0,1]
	s_delay_alu instid0(VALU_DEP_2) | instskip(NEXT) | instid1(VALU_DEP_2)
	v_pk_fma_f32 v[56:57], v[50:51], v[22:23], v[56:57] op_sel:[1,1,0] op_sel_hi:[0,1,1] neg_lo:[1,0,0]
	v_pk_fma_f32 v[40:41], v[50:51], v[20:21], v[40:41] op_sel:[1,1,0] op_sel_hi:[0,1,1] neg_lo:[1,0,0]
	s_delay_alu instid0(VALU_DEP_2) | instskip(NEXT) | instid1(VALU_DEP_2)
	v_pk_mul_f32 v[68:69], v[48:49], v[56:57] op_sel:[0,1] op_sel_hi:[0,0] neg_lo:[0,1]
	v_pk_mul_f32 v[48:49], v[48:49], v[40:41] op_sel:[0,1] op_sel_hi:[0,0] neg_lo:[0,1]
	s_delay_alu instid0(VALU_DEP_2) | instskip(NEXT) | instid1(VALU_DEP_2)
	v_pk_fma_f32 v[56:57], v[56:57], v[52:53], v[68:69] op_sel_hi:[1,0,1]
	v_pk_fma_f32 v[40:41], v[40:41], v[52:53], v[48:49] op_sel_hi:[1,0,1]
	s_wait_xcnt 0x1
	s_delay_alu instid0(VALU_DEP_2)
	v_pk_add_f32 v[32:33], v[70:71], v[56:57] neg_lo:[0,1] neg_hi:[0,1]
	v_pk_fma_f32 v[22:23], v[56:57], v[50:51], v[22:23] op_sel_hi:[1,0,1] neg_lo:[1,0,0] neg_hi:[1,0,0]
	v_pk_fma_f32 v[18:19], v[56:57], v[54:55], v[18:19] op_sel_hi:[1,0,1] neg_lo:[1,0,0] neg_hi:[1,0,0]
	v_pk_fma_f32 v[16:17], v[40:41], v[54:55], v[16:17] op_sel_hi:[1,0,1] neg_lo:[1,0,0] neg_hi:[1,0,0]
	v_pk_fma_f32 v[20:21], v[40:41], v[50:51], v[20:21] op_sel_hi:[1,0,1] neg_lo:[1,0,0] neg_hi:[1,0,0]
	v_pk_add_f32 v[34:35], v[66:67], v[40:41] neg_lo:[0,1] neg_hi:[0,1]
	global_store_b64 v[72:73], v[32:33], off
	s_wait_loadcnt 0x0
	s_wait_xcnt 0x0
	v_pk_fma_f32 v[32:33], v[26:27], v[54:55], v[44:45] op_sel_hi:[1,0,1] neg_lo:[1,0,0] neg_hi:[1,0,0]
	v_pk_fma_f32 v[22:23], v[56:57], v[50:51], v[22:23] op_sel:[1,1,0] op_sel_hi:[0,1,1] neg_hi:[1,0,0]
	v_pk_fma_f32 v[18:19], v[56:57], v[54:55], v[18:19] op_sel:[1,1,0] op_sel_hi:[0,1,1] neg_hi:[1,0,0]
	;; [unrolled: 1-line block ×4, first 2 shown]
	s_clause 0x2
	global_store_b64 v[42:43], v[34:35], off
	global_store_b64 v[12:13], v[38:39], off
	;; [unrolled: 1-line block ×4, first 2 shown]
	s_wait_xcnt 0x0
	v_pk_fma_f32 v[4:5], v[26:27], v[54:55], v[32:33] op_sel:[1,1,0] op_sel_hi:[0,1,1] neg_hi:[1,0,0]
	global_store_b64 v[10:11], v[22:23], off
	global_store_b64 v[2:3], v[16:17], off
	;; [unrolled: 1-line block ×6, first 2 shown]
.LBB7_5:                                ;   in Loop: Header=BB7_6 Depth=1
	s_wait_xcnt 0x0
	s_or_b32 exec_lo, exec_lo, s27
	v_dual_add_nc_u32 v58, s17, v58 :: v_dual_add_nc_u32 v59, s17, v59
	v_dual_add_nc_u32 v63, s17, v63 :: v_dual_add_nc_u32 v60, s18, v60
	;; [unrolled: 1-line block ×3, first 2 shown]
	s_add_co_i32 s26, s26, 1
	s_delay_alu instid0(SALU_CYCLE_1)
	s_cmp_eq_u32 s19, s26
	s_cbranch_scc1 .LBB7_13
.LBB7_6:                                ; =>This Inner Loop Header: Depth=1
	s_delay_alu instid0(VALU_DEP_1)
	v_dual_add_nc_u32 v26, s5, v60 :: v_dual_add_nc_u32 v28, s5, v61
	s_wait_kmcnt 0x0
	global_load_b64 v[52:53], v26, s[24:25] scale_offset
	global_load_b64 v[50:51], v28, s[22:23] scale_offset
	s_wait_loadcnt 0x1
	v_xor_b32_e32 v2, 0x80000000, v53
	s_wait_loadcnt 0x0
	v_dual_mov_b32 v3, v52 :: v_dual_mov_b32 v5, v50
	v_xor_b32_e32 v4, 0x80000000, v51
	v_dual_mov_b32 v46, v52 :: v_dual_mov_b32 v47, v52
	s_delay_alu instid0(VALU_DEP_3) | instskip(SKIP_1) | instid1(VALU_DEP_2)
	v_pk_mul_f32 v[2:3], v[52:53], v[2:3] op_sel:[1,0]
	v_dual_mov_b32 v48, v50 :: v_dual_mov_b32 v49, v50
	v_pk_fma_f32 v[2:3], v[52:53], v[52:53], v[2:3] op_sel_hi:[1,0,1]
	s_delay_alu instid0(VALU_DEP_1) | instskip(NEXT) | instid1(VALU_DEP_1)
	v_pk_fma_f32 v[2:3], v[50:51], v[50:51], v[2:3] op_sel_hi:[1,0,1]
	v_pk_fma_f32 v[54:55], v[4:5], v[50:51], v[2:3] op_sel:[0,1,0]
	s_delay_alu instid0(VALU_DEP_1) | instskip(NEXT) | instid1(VALU_DEP_2)
	v_cmp_neq_f32_e32 vcc_lo, 0, v54
	v_cmp_neq_f32_e64 s2, 0, v55
	s_or_b32 s2, vcc_lo, s2
	s_wait_xcnt 0x0
	s_and_saveexec_b32 s27, s2
	s_cbranch_execz .LBB7_5
; %bb.7:                                ;   in Loop: Header=BB7_6 Depth=1
	v_dual_add_nc_u32 v42, s5, v62 :: v_dual_ashrrev_i32 v29, 31, v28
	v_dual_ashrrev_i32 v27, 31, v26 :: v_dual_add_nc_u32 v30, s5, v59
                                        ; implicit-def: $vgpr43
	s_mov_b32 s2, exec_lo
	global_load_b64 v[44:45], v42, s[12:13] scale_offset
	v_lshlrev_b64_e32 v[6:7], 3, v[28:29]
	v_lshlrev_b64_e32 v[14:15], 3, v[26:27]
	v_add_nc_u32_e32 v32, s5, v58
	s_delay_alu instid0(VALU_DEP_3)
	v_add_nc_u64_e32 v[4:5], s[12:13], v[6:7]
	v_add_nc_u64_e32 v[2:3], s[14:15], v[6:7]
	;; [unrolled: 1-line block ×7, first 2 shown]
	s_wait_loadcnt 0x0
	v_mov_b32_e32 v57, v44
	s_clause 0x1
	global_load_b64 v[34:35], v32, s[6:7] scale_offset
	global_load_b64 v[36:37], v30, s[6:7] scale_offset
	global_load_b64 v[18:19], v[4:5], off
	global_load_b64 v[16:17], v[2:3], off
	;; [unrolled: 1-line block ×7, first 2 shown]
	v_xor_b32_e32 v56, 0x80000000, v45
	v_pk_fma_f32 v[64:65], v[44:45], v[44:45], v[54:55] op_sel_hi:[1,0,1]
	s_delay_alu instid0(VALU_DEP_1) | instskip(NEXT) | instid1(VALU_DEP_1)
	v_pk_fma_f32 v[56:57], v[56:57], v[44:45], v[64:65] op_sel:[0,1,0]
	v_cmp_gt_f32_e32 vcc_lo, 0, v56
	v_cndmask_b32_e64 v31, v56, -v56, vcc_lo
	s_delay_alu instid0(VALU_DEP_3) | instskip(SKIP_2) | instid1(VALU_DEP_1)
	v_cmp_gt_f32_e32 vcc_lo, 0, v57
	v_cndmask_b32_e64 v33, v57, -v57, vcc_lo
	s_wait_xcnt 0x0
	v_cmpx_ngt_f32_e32 v31, v33
	s_xor_b32 s3, exec_lo, s2
	s_cbranch_execz .LBB7_11
; %bb.8:                                ;   in Loop: Header=BB7_6 Depth=1
	v_mov_b32_e32 v43, 0
	s_mov_b32 s4, exec_lo
	v_cmpx_neq_f32_e32 0, v57
	s_cbranch_execz .LBB7_10
; %bb.9:                                ;   in Loop: Header=BB7_6 Depth=1
	v_div_scale_f32 v43, null, v33, v33, v31
	v_div_scale_f32 v66, vcc_lo, v31, v33, v31
	s_delay_alu instid0(VALU_DEP_2) | instskip(SKIP_1) | instid1(TRANS32_DEP_1)
	v_rcp_f32_e32 v64, v43
	v_nop
	v_fma_f32 v65, -v43, v64, 1.0
	s_delay_alu instid0(VALU_DEP_1) | instskip(NEXT) | instid1(VALU_DEP_1)
	v_fmac_f32_e32 v64, v65, v64
	v_mul_f32_e32 v65, v66, v64
	s_delay_alu instid0(VALU_DEP_1) | instskip(NEXT) | instid1(VALU_DEP_1)
	v_fma_f32 v67, -v43, v65, v66
	v_fmac_f32_e32 v65, v67, v64
	s_delay_alu instid0(VALU_DEP_1) | instskip(NEXT) | instid1(VALU_DEP_1)
	v_fma_f32 v43, -v43, v65, v66
	v_div_fmas_f32 v43, v43, v64, v65
	s_delay_alu instid0(VALU_DEP_1) | instskip(NEXT) | instid1(VALU_DEP_1)
	v_div_fixup_f32 v31, v43, v33, v31
	v_fma_f32 v31, v31, v31, 1.0
	s_delay_alu instid0(VALU_DEP_1) | instskip(SKIP_1) | instid1(VALU_DEP_2)
	v_mul_f32_e32 v43, 0x4f800000, v31
	v_cmp_gt_f32_e32 vcc_lo, 0xf800000, v31
	v_cndmask_b32_e32 v31, v31, v43, vcc_lo
	s_delay_alu instid0(VALU_DEP_1) | instskip(SKIP_1) | instid1(TRANS32_DEP_1)
	v_sqrt_f32_e32 v43, v31
	v_nop
	v_dual_add_nc_u32 v64, -1, v43 :: v_dual_add_nc_u32 v65, 1, v43
	s_delay_alu instid0(VALU_DEP_1) | instskip(NEXT) | instid1(VALU_DEP_1)
	v_fma_f32 v66, -v64, v43, v31
	v_cmp_ge_f32_e64 s2, 0, v66
	s_delay_alu instid0(VALU_DEP_1) | instskip(NEXT) | instid1(VALU_DEP_1)
	v_dual_fma_f32 v67, -v65, v43, v31 :: v_dual_cndmask_b32 v43, v43, v64, s2
	v_cmp_lt_f32_e64 s2, 0, v67
	s_delay_alu instid0(VALU_DEP_1) | instskip(NEXT) | instid1(VALU_DEP_1)
	v_cndmask_b32_e64 v43, v43, v65, s2
	v_mul_f32_e32 v64, 0x37800000, v43
	s_delay_alu instid0(VALU_DEP_1) | instskip(SKIP_1) | instid1(VALU_DEP_2)
	v_cndmask_b32_e32 v43, v43, v64, vcc_lo
	v_cmp_class_f32_e64 vcc_lo, v31, 0x260
	v_cndmask_b32_e32 v31, v43, v31, vcc_lo
	s_delay_alu instid0(VALU_DEP_1)
	v_mul_f32_e32 v43, v33, v31
.LBB7_10:                               ;   in Loop: Header=BB7_6 Depth=1
	s_or_b32 exec_lo, exec_lo, s4
                                        ; implicit-def: $vgpr31
                                        ; implicit-def: $vgpr33
.LBB7_11:                               ;   in Loop: Header=BB7_6 Depth=1
	s_and_not1_saveexec_b32 s3, s3
	s_cbranch_execz .LBB7_4
; %bb.12:                               ;   in Loop: Header=BB7_6 Depth=1
	v_div_scale_f32 v43, null, v31, v31, v33
	v_div_scale_f32 v66, vcc_lo, v33, v31, v33
	s_delay_alu instid0(VALU_DEP_2) | instskip(SKIP_1) | instid1(TRANS32_DEP_1)
	v_rcp_f32_e32 v64, v43
	v_nop
	v_fma_f32 v65, -v43, v64, 1.0
	s_delay_alu instid0(VALU_DEP_1) | instskip(NEXT) | instid1(VALU_DEP_1)
	v_fmac_f32_e32 v64, v65, v64
	v_mul_f32_e32 v65, v66, v64
	s_delay_alu instid0(VALU_DEP_1) | instskip(NEXT) | instid1(VALU_DEP_1)
	v_fma_f32 v67, -v43, v65, v66
	v_fmac_f32_e32 v65, v67, v64
	s_delay_alu instid0(VALU_DEP_1) | instskip(NEXT) | instid1(VALU_DEP_1)
	v_fma_f32 v43, -v43, v65, v66
	v_div_fmas_f32 v43, v43, v64, v65
	s_delay_alu instid0(VALU_DEP_1) | instskip(NEXT) | instid1(VALU_DEP_1)
	v_div_fixup_f32 v33, v43, v31, v33
	v_fma_f32 v33, v33, v33, 1.0
	s_delay_alu instid0(VALU_DEP_1) | instskip(SKIP_1) | instid1(VALU_DEP_2)
	v_mul_f32_e32 v43, 0x4f800000, v33
	v_cmp_gt_f32_e32 vcc_lo, 0xf800000, v33
	v_cndmask_b32_e32 v33, v33, v43, vcc_lo
	s_delay_alu instid0(VALU_DEP_1) | instskip(SKIP_1) | instid1(TRANS32_DEP_1)
	v_sqrt_f32_e32 v43, v33
	v_nop
	v_dual_add_nc_u32 v64, -1, v43 :: v_dual_add_nc_u32 v65, 1, v43
	s_delay_alu instid0(VALU_DEP_1) | instskip(NEXT) | instid1(VALU_DEP_1)
	v_fma_f32 v66, -v64, v43, v33
	v_cmp_ge_f32_e64 s2, 0, v66
	s_delay_alu instid0(VALU_DEP_1) | instskip(NEXT) | instid1(VALU_DEP_1)
	v_dual_fma_f32 v67, -v65, v43, v33 :: v_dual_cndmask_b32 v43, v43, v64, s2
	v_cmp_lt_f32_e64 s2, 0, v67
	s_delay_alu instid0(VALU_DEP_1) | instskip(NEXT) | instid1(VALU_DEP_1)
	v_cndmask_b32_e64 v43, v43, v65, s2
	v_mul_f32_e32 v64, 0x37800000, v43
	s_delay_alu instid0(VALU_DEP_1) | instskip(SKIP_1) | instid1(VALU_DEP_2)
	v_cndmask_b32_e32 v43, v43, v64, vcc_lo
	v_cmp_class_f32_e64 vcc_lo, v33, 0x260
	v_cndmask_b32_e32 v33, v43, v33, vcc_lo
	s_delay_alu instid0(VALU_DEP_1)
	v_mul_f32_e32 v43, v31, v33
	s_branch .LBB7_4
.LBB7_13:
	s_mov_b32 s3, s19
.LBB7_14:
	s_delay_alu instid0(SALU_CYCLE_1) | instskip(NEXT) | instid1(VALU_DEP_1)
	v_mad_u32 v28, s3, s18, v1
	v_add_nc_u32_e32 v22, s18, v28
	s_wait_kmcnt 0x0
	global_load_b64 v[30:31], v22, s[22:23] scale_offset
	s_wait_loadcnt 0x0
	v_xor_b32_e32 v2, 0x80000000, v31
	v_pk_fma_f32 v[4:5], v[30:31], v[30:31], 0 op_sel_hi:[1,0,0]
	v_dual_mov_b32 v3, v30 :: v_dual_mov_b32 v8, v31
	v_dual_mov_b32 v10, v30 :: v_dual_mov_b32 v11, v30
	s_delay_alu instid0(VALU_DEP_2) | instskip(NEXT) | instid1(VALU_DEP_1)
	v_pk_fma_f32 v[32:33], v[2:3], v[30:31], v[4:5] op_sel:[0,1,0]
	v_cmp_neq_f32_e32 vcc_lo, 0, v32
	s_delay_alu instid0(VALU_DEP_2)
	v_cmp_neq_f32_e64 s2, 0, v33
	s_or_b32 s2, vcc_lo, s2
	s_wait_xcnt 0x0
	s_and_saveexec_b32 s4, s2
	s_cbranch_execz .LBB7_22
; %bb.15:
	v_mad_u32 v1, s3, s17, v1
	global_load_b64 v[16:17], v28, s[12:13] scale_offset
	v_dual_ashrrev_i32 v23, 31, v22 :: v_dual_ashrrev_i32 v29, 31, v28
                                        ; implicit-def: $vgpr38
	s_mov_b32 s2, exec_lo
	v_add_nc_u32_e32 v36, s17, v1
	s_delay_alu instid0(VALU_DEP_2) | instskip(NEXT) | instid1(VALU_DEP_2)
	v_lshlrev_b64_e32 v[6:7], 3, v[22:23]
	v_ashrrev_i32_e32 v37, 31, v36
	s_delay_alu instid0(VALU_DEP_2)
	v_add_nc_u64_e32 v[2:3], s[12:13], v[6:7]
	v_add_nc_u64_e32 v[4:5], s[14:15], v[6:7]
	;; [unrolled: 1-line block ×3, first 2 shown]
	global_load_b64 v[18:19], v36, s[6:7] scale_offset
	global_load_b64 v[12:13], v[2:3], off
	global_load_b64 v[14:15], v[4:5], off
	;; [unrolled: 1-line block ×3, first 2 shown]
	s_wait_loadcnt 0x4
	v_xor_b32_e32 v24, 0x80000000, v17
	v_pk_fma_f32 v[26:27], v[16:17], v[16:17], v[32:33] op_sel_hi:[1,0,1]
	v_mov_b32_e32 v25, v16
	s_delay_alu instid0(VALU_DEP_1) | instskip(NEXT) | instid1(VALU_DEP_1)
	v_pk_fma_f32 v[34:35], v[24:25], v[16:17], v[26:27] op_sel:[0,1,0]
	v_cmp_gt_f32_e32 vcc_lo, 0, v34
	v_cndmask_b32_e64 v39, v34, -v34, vcc_lo
	s_delay_alu instid0(VALU_DEP_3) | instskip(SKIP_2) | instid1(VALU_DEP_1)
	v_cmp_gt_f32_e32 vcc_lo, 0, v35
	v_cndmask_b32_e64 v40, v35, -v35, vcc_lo
	s_wait_xcnt 0x0
	v_cmpx_ngt_f32_e32 v39, v40
	s_xor_b32 s3, exec_lo, s2
	s_cbranch_execz .LBB7_19
; %bb.16:
	v_mov_b32_e32 v38, 0
	s_mov_b32 s19, exec_lo
	v_cmpx_neq_f32_e32 0, v35
	s_cbranch_execz .LBB7_18
; %bb.17:
	v_div_scale_f32 v9, null, v40, v40, v39
	v_div_scale_f32 v26, vcc_lo, v39, v40, v39
	s_delay_alu instid0(VALU_DEP_2) | instskip(SKIP_1) | instid1(TRANS32_DEP_1)
	v_rcp_f32_e32 v24, v9
	v_nop
	v_fma_f32 v25, -v9, v24, 1.0
	s_delay_alu instid0(VALU_DEP_1) | instskip(NEXT) | instid1(VALU_DEP_1)
	v_fmac_f32_e32 v24, v25, v24
	v_mul_f32_e32 v25, v26, v24
	s_delay_alu instid0(VALU_DEP_1) | instskip(NEXT) | instid1(VALU_DEP_1)
	v_fma_f32 v27, -v9, v25, v26
	v_fmac_f32_e32 v25, v27, v24
	s_delay_alu instid0(VALU_DEP_1) | instskip(NEXT) | instid1(VALU_DEP_1)
	v_fma_f32 v9, -v9, v25, v26
	v_div_fmas_f32 v9, v9, v24, v25
	s_delay_alu instid0(VALU_DEP_1) | instskip(NEXT) | instid1(VALU_DEP_1)
	v_div_fixup_f32 v9, v9, v40, v39
	v_fma_f32 v9, v9, v9, 1.0
	s_delay_alu instid0(VALU_DEP_1) | instskip(SKIP_1) | instid1(VALU_DEP_2)
	v_mul_f32_e32 v24, 0x4f800000, v9
	v_cmp_gt_f32_e32 vcc_lo, 0xf800000, v9
	v_cndmask_b32_e32 v9, v9, v24, vcc_lo
	s_delay_alu instid0(VALU_DEP_1) | instskip(SKIP_1) | instid1(TRANS32_DEP_1)
	v_sqrt_f32_e32 v24, v9
	v_nop
	v_dual_add_nc_u32 v25, -1, v24 :: v_dual_add_nc_u32 v26, 1, v24
	s_delay_alu instid0(VALU_DEP_1) | instskip(NEXT) | instid1(VALU_DEP_1)
	v_dual_fma_f32 v27, -v25, v24, v9 :: v_dual_fma_f32 v38, -v26, v24, v9
	v_cmp_ge_f32_e64 s2, 0, v27
	s_delay_alu instid0(VALU_DEP_1) | instskip(NEXT) | instid1(VALU_DEP_3)
	v_cndmask_b32_e64 v24, v24, v25, s2
	v_cmp_lt_f32_e64 s2, 0, v38
	s_delay_alu instid0(VALU_DEP_1) | instskip(NEXT) | instid1(VALU_DEP_1)
	v_cndmask_b32_e64 v24, v24, v26, s2
	v_mul_f32_e32 v25, 0x37800000, v24
	s_delay_alu instid0(VALU_DEP_1) | instskip(SKIP_1) | instid1(VALU_DEP_2)
	v_cndmask_b32_e32 v24, v24, v25, vcc_lo
	v_cmp_class_f32_e64 vcc_lo, v9, 0x260
	v_cndmask_b32_e32 v9, v24, v9, vcc_lo
	s_delay_alu instid0(VALU_DEP_1)
	v_mul_f32_e32 v38, v40, v9
.LBB7_18:
	s_or_b32 exec_lo, exec_lo, s19
                                        ; implicit-def: $vgpr39
                                        ; implicit-def: $vgpr40
.LBB7_19:
	s_or_saveexec_b32 s3, s3
	v_lshl_add_u64 v[26:27], v[22:23], 3, s[22:23]
	v_mov_b32_e32 v9, v31
	v_lshl_add_u64 v[22:23], v[36:37], 3, s[6:7]
	v_lshl_add_u64 v[24:25], v[28:29], 3, s[12:13]
	s_xor_b32 exec_lo, exec_lo, s3
	s_cbranch_execz .LBB7_21
; %bb.20:
	v_div_scale_f32 v38, null, v39, v39, v40
	v_div_scale_f32 v43, vcc_lo, v40, v39, v40
	s_delay_alu instid0(VALU_DEP_2) | instskip(SKIP_1) | instid1(TRANS32_DEP_1)
	v_rcp_f32_e32 v41, v38
	v_nop
	v_fma_f32 v42, -v38, v41, 1.0
	s_delay_alu instid0(VALU_DEP_1) | instskip(NEXT) | instid1(VALU_DEP_1)
	v_fmac_f32_e32 v41, v42, v41
	v_mul_f32_e32 v42, v43, v41
	s_delay_alu instid0(VALU_DEP_1) | instskip(NEXT) | instid1(VALU_DEP_1)
	v_fma_f32 v44, -v38, v42, v43
	v_fmac_f32_e32 v42, v44, v41
	s_delay_alu instid0(VALU_DEP_1) | instskip(NEXT) | instid1(VALU_DEP_1)
	v_fma_f32 v38, -v38, v42, v43
	v_div_fmas_f32 v38, v38, v41, v42
	s_delay_alu instid0(VALU_DEP_1) | instskip(NEXT) | instid1(VALU_DEP_1)
	v_div_fixup_f32 v38, v38, v39, v40
	v_fma_f32 v38, v38, v38, 1.0
	s_delay_alu instid0(VALU_DEP_1) | instskip(SKIP_1) | instid1(VALU_DEP_2)
	v_mul_f32_e32 v40, 0x4f800000, v38
	v_cmp_gt_f32_e32 vcc_lo, 0xf800000, v38
	v_cndmask_b32_e32 v38, v38, v40, vcc_lo
	s_delay_alu instid0(VALU_DEP_1) | instskip(SKIP_1) | instid1(TRANS32_DEP_1)
	v_sqrt_f32_e32 v40, v38
	v_nop
	v_dual_add_nc_u32 v41, -1, v40 :: v_dual_add_nc_u32 v42, 1, v40
	s_delay_alu instid0(VALU_DEP_1) | instskip(NEXT) | instid1(VALU_DEP_1)
	v_fma_f32 v43, -v41, v40, v38
	v_cmp_ge_f32_e64 s2, 0, v43
	s_delay_alu instid0(VALU_DEP_1) | instskip(NEXT) | instid1(VALU_DEP_1)
	v_dual_fma_f32 v44, -v42, v40, v38 :: v_dual_cndmask_b32 v40, v40, v41, s2
	v_cmp_lt_f32_e64 s2, 0, v44
	s_delay_alu instid0(VALU_DEP_1) | instskip(NEXT) | instid1(VALU_DEP_1)
	v_cndmask_b32_e64 v40, v40, v42, s2
	v_mul_f32_e32 v41, 0x37800000, v40
	s_delay_alu instid0(VALU_DEP_1) | instskip(SKIP_1) | instid1(VALU_DEP_2)
	v_cndmask_b32_e32 v40, v40, v41, vcc_lo
	v_cmp_class_f32_e64 vcc_lo, v38, 0x260
	v_cndmask_b32_e32 v38, v40, v38, vcc_lo
	s_delay_alu instid0(VALU_DEP_1)
	v_mul_f32_e32 v38, v39, v38
.LBB7_21:
	s_or_b32 exec_lo, exec_lo, s3
	v_lshl_add_u64 v[36:37], v[36:37], 3, s[8:9]
	s_delay_alu instid0(VALU_DEP_2)
	v_sub_f32_e32 v39, v38, v34
	s_clause 0x2
	global_load_b64 v[40:41], v1, s[8:9] scale_offset
	global_load_b64 v[42:43], v1, s[10:11] scale_offset
	;; [unrolled: 1-line block ×3, first 2 shown]
	global_load_b64 v[46:47], v[36:37], off
	v_add_f32_e32 v34, v34, v38
	v_lshlrev_b64_e32 v[28:29], 3, v[28:29]
	s_delay_alu instid0(VALU_DEP_2) | instskip(NEXT) | instid1(VALU_DEP_1)
	v_dual_mul_f32 v34, 0.5, v34 :: v_dual_mul_f32 v38, 0.5, v39
	v_mul_f32_e32 v48, 0x4f800000, v34
	v_cmp_gt_f32_e64 s2, 0xf800000, v34
	s_delay_alu instid0(VALU_DEP_3) | instskip(NEXT) | instid1(VALU_DEP_2)
	v_cmp_gt_f32_e32 vcc_lo, 0xf800000, v38
	v_cndmask_b32_e64 v34, v34, v48, s2
	s_delay_alu instid0(VALU_DEP_1) | instskip(SKIP_1) | instid1(TRANS32_DEP_1)
	v_sqrt_f32_e32 v48, v34
	v_nop
	v_dual_mul_f32 v39, 0x4f800000, v38 :: v_dual_add_nc_u32 v50, -1, v48
	s_delay_alu instid0(VALU_DEP_1) | instskip(NEXT) | instid1(VALU_DEP_1)
	v_cndmask_b32_e32 v38, v38, v39, vcc_lo
	v_sqrt_f32_e32 v39, v38
	v_nop
	s_delay_alu instid0(TRANS32_DEP_1) | instskip(NEXT) | instid1(VALU_DEP_1)
	v_dual_add_nc_u32 v49, -1, v39 :: v_dual_add_nc_u32 v51, 1, v39
	v_dual_fma_f32 v52, -v49, v39, v38 :: v_dual_add_nc_u32 v53, 1, v48
	v_fma_f32 v54, -v50, v48, v34
	s_delay_alu instid0(VALU_DEP_3) | instskip(NEXT) | instid1(VALU_DEP_3)
	v_fma_f32 v55, -v51, v39, v38
	v_cmp_ge_f32_e64 s3, 0, v52
	s_delay_alu instid0(VALU_DEP_1) | instskip(NEXT) | instid1(VALU_DEP_4)
	v_dual_cndmask_b32 v39, v39, v49, s3 :: v_dual_fma_f32 v49, -v53, v48, v34
	v_cmp_ge_f32_e64 s3, 0, v54
	s_delay_alu instid0(VALU_DEP_1) | instskip(SKIP_1) | instid1(VALU_DEP_1)
	v_cndmask_b32_e64 v48, v48, v50, s3
	v_cmp_lt_f32_e64 s3, 0, v55
	v_cndmask_b32_e64 v39, v39, v51, s3
	v_cmp_lt_f32_e64 s3, 0, v49
	s_delay_alu instid0(VALU_DEP_1) | instskip(NEXT) | instid1(VALU_DEP_1)
	v_cndmask_b32_e64 v48, v48, v53, s3
	v_dual_mul_f32 v49, 0x37800000, v39 :: v_dual_mul_f32 v50, 0x37800000, v48
	s_delay_alu instid0(VALU_DEP_1) | instskip(SKIP_1) | instid1(VALU_DEP_3)
	v_cndmask_b32_e32 v39, v39, v49, vcc_lo
	v_cmp_class_f32_e64 vcc_lo, v38, 0x260
	v_cndmask_b32_e64 v48, v48, v50, s2
	s_delay_alu instid0(VALU_DEP_3) | instskip(SKIP_1) | instid1(VALU_DEP_3)
	v_cndmask_b32_e32 v38, v39, v38, vcc_lo
	v_cmp_class_f32_e64 vcc_lo, v34, 0x260
	v_cndmask_b32_e32 v34, v48, v34, vcc_lo
	v_cmp_gt_f32_e32 vcc_lo, 0, v35
	s_delay_alu instid0(VALU_DEP_3) | instskip(SKIP_1) | instid1(VALU_DEP_4)
	v_cndmask_b32_e64 v35, v38, -v38, vcc_lo
	v_cmp_lt_f32_e32 vcc_lo, 0, v16
	v_cndmask_b32_e64 v38, -v34, v34, vcc_lo
	s_delay_alu instid0(VALU_DEP_1) | instskip(NEXT) | instid1(VALU_DEP_1)
	v_dual_add_f32 v38, v16, v38 :: v_dual_cndmask_b32 v34, -v35, v35, vcc_lo
	v_add_f32_e32 v34, v17, v34
	s_delay_alu instid0(VALU_DEP_1) | instskip(NEXT) | instid1(VALU_DEP_1)
	v_mul_f32_e32 v35, v34, v34
	v_fmac_f32_e32 v35, v38, v38
	s_delay_alu instid0(VALU_DEP_1) | instskip(SKIP_1) | instid1(VALU_DEP_2)
	v_div_scale_f32 v39, null, v35, v35, 1.0
	v_div_scale_f32 v50, vcc_lo, 1.0, v35, 1.0
	v_rcp_f32_e32 v52, v39
	v_nop
	s_delay_alu instid0(TRANS32_DEP_1) | instskip(NEXT) | instid1(VALU_DEP_1)
	v_fma_f32 v48, -v39, v52, 1.0
	v_fmac_f32_e32 v52, v48, v52
	s_delay_alu instid0(VALU_DEP_1) | instskip(NEXT) | instid1(VALU_DEP_1)
	v_mul_f32_e32 v53, v50, v52
	v_fma_f32 v48, -v39, v53, v50
	s_delay_alu instid0(VALU_DEP_1) | instskip(SKIP_1) | instid1(VALU_DEP_2)
	v_fmac_f32_e32 v53, v48, v52
	v_mov_b64_e32 v[48:49], 0x8000000000000000
	v_fma_f32 v39, -v39, v53, v50
	v_pk_mul_f32 v[50:51], v[34:35], v[30:31] op_sel:[0,1] op_sel_hi:[0,0] neg_hi:[0,1]
	s_delay_alu instid0(VALU_DEP_2) | instskip(SKIP_1) | instid1(VALU_DEP_2)
	v_div_fmas_f32 v39, v39, v52, v53
	v_mul_f32_e64 v52, v34, -v34
	v_pk_fma_f32 v[30:31], v[30:31], v[38:39], v[50:51] op_sel_hi:[1,0,1]
	v_div_fixup_f32 v50, v39, v35, 1.0
	s_delay_alu instid0(VALU_DEP_1) | instskip(NEXT) | instid1(VALU_DEP_4)
	v_pk_mul_f32 v[30:31], v[30:31], v[50:51] op_sel_hi:[1,0]
	v_fmac_f32_e32 v52, v38, v38
	v_mul_f32_e32 v54, v38, v34
	s_delay_alu instid0(VALU_DEP_3) | instskip(SKIP_1) | instid1(VALU_DEP_3)
	v_fma_f32 v51, v31, v30, 0
	v_pk_fma_f32 v[10:11], v[30:31], v[10:11], v[16:17]
	v_fmac_f32_e32 v54, v34, v38
	v_pk_mul_f32 v[34:35], v[34:35], v[48:49] op_sel_hi:[0,1]
	v_add_f32_e32 v48, v32, v52
	s_delay_alu instid0(VALU_DEP_4) | instskip(NEXT) | instid1(VALU_DEP_4)
	v_pk_fma_f32 v[8:9], v[30:31], v[8:9], v[10:11] op_sel:[1,0,0] op_sel_hi:[0,1,1] neg_lo:[1,0,0]
	v_add_f32_e32 v39, v33, v54
	s_delay_alu instid0(VALU_DEP_1) | instskip(SKIP_1) | instid1(VALU_DEP_2)
	v_pk_fma_f32 v[32:33], v[38:39], 0, v[34:35] op_sel_hi:[0,0,1]
	v_fma_f32 v34, v30, v30, 1.0
	v_pk_mul_f32 v[32:33], v[32:33], v[50:51] op_sel_hi:[1,0]
	v_fmac_f32_e32 v51, v30, v31
	v_mul_f32_e32 v49, v39, v39
	s_delay_alu instid0(VALU_DEP_4) | instskip(NEXT) | instid1(VALU_DEP_4)
	v_fma_f32 v34, -v31, v31, v34
	v_pk_fma_f32 v[8:9], v[32:33], 0, v[8:9] op_sel_hi:[1,0,1]
	s_delay_alu instid0(VALU_DEP_4) | instskip(NEXT) | instid1(VALU_DEP_4)
	v_fmac_f32_e32 v51, v33, v32
	v_fmac_f32_e32 v49, v48, v48
	s_delay_alu instid0(VALU_DEP_4) | instskip(NEXT) | instid1(VALU_DEP_3)
	v_dual_fmac_f32 v34, v32, v32 :: v_dual_mul_f32 v59, 0x80000000, v54
	v_dual_add_f32 v54, v54, v54 :: v_dual_fmac_f32 v51, v32, v33
	s_delay_alu instid0(VALU_DEP_3) | instskip(NEXT) | instid1(VALU_DEP_3)
	v_div_scale_f32 v38, null, v49, v49, 1.0
	v_fma_f32 v53, -v33, v33, v34
	v_div_scale_f32 v55, vcc_lo, 1.0, v49, 1.0
	s_delay_alu instid0(VALU_DEP_3) | instskip(SKIP_3) | instid1(VALU_DEP_3)
	v_rcp_f32_e32 v50, v38
	v_fmac_f32_e32 v59, 2.0, v52
	v_pk_fma_f32 v[8:9], v[32:33], 0, v[8:9] op_sel:[1,0,0] op_sel_hi:[0,0,1] neg_lo:[1,0,0]
	v_dual_fmac_f32 v54, 0, v52 :: v_dual_mul_f32 v64, -2.0, v51
	v_mul_f32_e64 v52, v39, -v59
	s_delay_alu instid0(TRANS32_DEP_1) | instskip(NEXT) | instid1(VALU_DEP_1)
	v_fma_f32 v35, -v38, v50, 1.0
	v_dual_fmac_f32 v64, 0, v53 :: v_dual_fmac_f32 v50, v35, v50
	v_add_nc_u64_e32 v[34:35], s[14:15], v[28:29]
	v_add_nc_u64_e32 v[28:29], s[20:21], v[28:29]
	s_delay_alu instid0(VALU_DEP_3) | instskip(SKIP_1) | instid1(VALU_DEP_1)
	v_mul_f32_e32 v56, v55, v50
	v_dual_mul_f32 v60, v51, v51 :: v_dual_mul_f32 v51, 0, v51
	v_dual_fma_f32 v58, -v38, v56, v55 :: v_dual_fmac_f32 v60, v53, v53
	s_delay_alu instid0(VALU_DEP_1) | instskip(NEXT) | instid1(VALU_DEP_2)
	v_dual_fmac_f32 v51, 2.0, v53 :: v_dual_fmac_f32 v56, v58, v50
	v_div_scale_f32 v57, null, v60, v60, 1.0
	v_div_scale_f32 v62, s2, 1.0, v60, 1.0
	s_delay_alu instid0(VALU_DEP_3) | instskip(NEXT) | instid1(VALU_DEP_3)
	v_fma_f32 v38, -v38, v56, v55
	v_rcp_f32_e32 v61, v57
	v_mul_f32_e32 v55, v39, v54
	s_delay_alu instid0(VALU_DEP_2) | instskip(SKIP_1) | instid1(VALU_DEP_2)
	v_div_fmas_f32 v38, v38, v50, v56
	s_mov_b32 vcc_lo, s2
	v_fmac_f32_e32 v55, v59, v48
	s_delay_alu instid0(TRANS32_DEP_1) | instskip(NEXT) | instid1(VALU_DEP_1)
	v_fma_f32 v58, -v57, v61, 1.0
	v_fmac_f32_e32 v61, v58, v61
	s_delay_alu instid0(VALU_DEP_1)
	v_mul_f32_e32 v63, v62, v61
	v_fmac_f32_e32 v52, v54, v48
	v_div_fixup_f32 v54, v38, v49, 1.0
	global_load_b64 v[38:39], v[34:35], off
	global_load_b64 v[48:49], v[28:29], off
	global_store_b64 v[26:27], v[30:31], off
	v_dual_fma_f32 v56, -v57, v63, v62 :: v_dual_mul_f32 v50, v52, v54
	s_delay_alu instid0(VALU_DEP_1) | instskip(NEXT) | instid1(VALU_DEP_1)
	v_dual_mul_f32 v52, v54, v55 :: v_dual_fmac_f32 v63, v56, v61
	v_fma_f32 v62, -v57, v63, v62
	s_delay_alu instid0(VALU_DEP_1)
	v_div_fmas_f32 v61, v62, v61, v63
	s_wait_loadcnt 0x5
	v_pk_fma_f32 v[54:55], v[30:31], v[20:21], v[40:41] op_sel_hi:[1,0,1]
	s_wait_loadcnt 0x3
	v_pk_fma_f32 v[56:57], v[30:31], v[18:19], v[44:45] op_sel_hi:[1,0,1]
	;; [unrolled: 2-line block ×3, first 2 shown]
	v_pk_fma_f32 v[54:55], v[30:31], v[20:21], v[54:55] op_sel:[1,1,0] op_sel_hi:[0,1,1] neg_lo:[1,0,0]
	s_delay_alu instid0(VALU_DEP_3) | instskip(NEXT) | instid1(VALU_DEP_3)
	v_pk_fma_f32 v[56:57], v[30:31], v[18:19], v[56:57] op_sel:[1,1,0] op_sel_hi:[0,1,1] neg_lo:[1,0,0]
	v_pk_fma_f32 v[46:47], v[30:31], v[46:47], v[58:59] op_sel:[1,1,0] op_sel_hi:[0,1,1] neg_lo:[1,0,0]
	v_div_fixup_f32 v59, v61, v60, 1.0
	s_delay_alu instid0(VALU_DEP_4) | instskip(NEXT) | instid1(VALU_DEP_4)
	v_pk_fma_f32 v[54:55], v[32:33], 0, v[54:55] op_sel_hi:[1,0,1]
	v_pk_fma_f32 v[56:57], v[32:33], 0, v[56:57] op_sel_hi:[1,0,1]
	s_delay_alu instid0(VALU_DEP_4) | instskip(NEXT) | instid1(VALU_DEP_4)
	v_pk_fma_f32 v[46:47], v[32:33], 0, v[46:47] op_sel_hi:[1,0,1]
	v_dual_mul_f32 v58, v64, v59 :: v_dual_mul_f32 v62, v51, v59
	s_delay_alu instid0(VALU_DEP_4) | instskip(NEXT) | instid1(VALU_DEP_4)
	v_pk_fma_f32 v[54:55], v[32:33], 0, v[54:55] op_sel:[1,0,0] op_sel_hi:[0,0,1] neg_lo:[1,0,0]
	v_pk_fma_f32 v[56:57], v[32:33], 0, v[56:57] op_sel:[1,0,0] op_sel_hi:[0,0,1] neg_lo:[1,0,0]
	s_delay_alu instid0(VALU_DEP_4) | instskip(NEXT) | instid1(VALU_DEP_3)
	v_pk_fma_f32 v[46:47], v[32:33], 0, v[46:47] op_sel:[1,0,0] op_sel_hi:[0,0,1] neg_lo:[1,0,0]
	v_pk_mul_f32 v[60:61], v[50:51], v[54:55] op_sel:[0,1] op_sel_hi:[0,0] neg_lo:[0,1]
	s_delay_alu instid0(VALU_DEP_3) | instskip(NEXT) | instid1(VALU_DEP_3)
	v_pk_mul_f32 v[58:59], v[58:59], v[56:57] op_sel:[0,1] op_sel_hi:[0,0] neg_lo:[0,1]
	v_pk_mul_f32 v[64:65], v[50:51], v[46:47] op_sel:[0,1] op_sel_hi:[0,0] neg_lo:[0,1]
	s_delay_alu instid0(VALU_DEP_3) | instskip(NEXT) | instid1(VALU_DEP_3)
	v_pk_fma_f32 v[54:55], v[54:55], v[52:53], v[60:61] op_sel_hi:[1,0,1]
	v_pk_fma_f32 v[56:57], v[56:57], v[62:63], v[58:59] op_sel_hi:[1,0,1]
	v_pk_mul_f32 v[60:61], v[50:51], v[8:9] op_sel:[0,1] op_sel_hi:[0,0] neg_lo:[0,1]
	s_delay_alu instid0(VALU_DEP_4) | instskip(NEXT) | instid1(VALU_DEP_4)
	v_pk_fma_f32 v[46:47], v[46:47], v[52:53], v[64:65] op_sel_hi:[1,0,1]
	v_pk_add_f32 v[40:41], v[40:41], v[54:55] neg_lo:[0,1] neg_hi:[0,1]
	s_delay_alu instid0(VALU_DEP_4) | instskip(NEXT) | instid1(VALU_DEP_4)
	v_pk_fma_f32 v[18:19], v[30:31], v[56:57], v[18:19] op_sel_hi:[1,0,1] neg_lo:[1,0,0] neg_hi:[1,0,0]
	v_pk_fma_f32 v[8:9], v[8:9], v[52:53], v[60:61] op_sel_hi:[1,0,1]
	v_pk_add_f32 v[44:45], v[44:45], v[56:57] neg_lo:[0,1] neg_hi:[0,1]
	v_pk_add_f32 v[42:43], v[42:43], v[46:47] neg_lo:[0,1] neg_hi:[0,1]
	s_clause 0x1
	global_store_b64 v1, v[40:41], s[8:9] scale_offset
	global_load_b64 v[40:41], v[36:37], off
	v_pk_add_f32 v[8:9], v[16:17], v[8:9] neg_lo:[0,1] neg_hi:[0,1]
	v_pk_fma_f32 v[16:17], v[54:55], v[30:31], v[20:21] op_sel_hi:[1,0,1] neg_lo:[1,0,0] neg_hi:[1,0,0]
	global_store_b64 v[24:25], v[8:9], off
	s_wait_xcnt 0x0
	v_pk_fma_f32 v[8:9], v[54:55], v[30:31], v[16:17] op_sel:[1,1,0] op_sel_hi:[0,1,1] neg_hi:[1,0,0]
	v_pk_fma_f32 v[16:17], v[30:31], v[56:57], v[18:19] op_sel:[1,1,0] op_sel_hi:[0,1,1] neg_hi:[1,0,0]
	s_clause 0x1
	global_store_b64 v1, v[44:45], s[6:7] scale_offset
	global_store_b64 v1, v[42:43], s[10:11] scale_offset
	s_wait_loadcnt 0x2
	v_pk_fma_f32 v[10:11], v[30:31], v[12:13], v[38:39] op_sel_hi:[1,0,1]
	s_wait_loadcnt 0x1
	v_pk_fma_f32 v[58:59], v[30:31], v[14:15], v[48:49] op_sel_hi:[1,0,1]
	s_delay_alu instid0(VALU_DEP_2) | instskip(NEXT) | instid1(VALU_DEP_2)
	v_pk_fma_f32 v[10:11], v[30:31], v[12:13], v[10:11] op_sel:[1,1,0] op_sel_hi:[0,1,1] neg_lo:[1,0,0]
	v_pk_fma_f32 v[58:59], v[30:31], v[14:15], v[58:59] op_sel:[1,1,0] op_sel_hi:[0,1,1] neg_lo:[1,0,0]
	s_delay_alu instid0(VALU_DEP_2) | instskip(NEXT) | instid1(VALU_DEP_2)
	v_pk_fma_f32 v[10:11], v[32:33], 0, v[10:11] op_sel_hi:[1,0,1]
	v_pk_fma_f32 v[58:59], v[32:33], 0, v[58:59] op_sel_hi:[1,0,1]
	s_delay_alu instid0(VALU_DEP_2) | instskip(NEXT) | instid1(VALU_DEP_2)
	v_pk_fma_f32 v[10:11], v[32:33], 0, v[10:11] op_sel:[1,0,0] op_sel_hi:[0,0,1] neg_lo:[1,0,0]
	v_pk_fma_f32 v[26:27], v[32:33], 0, v[58:59] op_sel:[1,0,0] op_sel_hi:[0,0,1] neg_lo:[1,0,0]
	s_delay_alu instid0(VALU_DEP_2) | instskip(NEXT) | instid1(VALU_DEP_2)
	v_pk_mul_f32 v[20:21], v[50:51], v[10:11] op_sel:[0,1] op_sel_hi:[0,0] neg_lo:[0,1]
	v_pk_mul_f32 v[32:33], v[50:51], v[26:27] op_sel:[0,1] op_sel_hi:[0,0] neg_lo:[0,1]
	s_delay_alu instid0(VALU_DEP_2) | instskip(NEXT) | instid1(VALU_DEP_2)
	v_pk_fma_f32 v[10:11], v[10:11], v[52:53], v[20:21] op_sel_hi:[1,0,1]
	v_pk_fma_f32 v[18:19], v[26:27], v[52:53], v[32:33] op_sel_hi:[1,0,1]
	s_delay_alu instid0(VALU_DEP_2) | instskip(NEXT) | instid1(VALU_DEP_2)
	v_pk_fma_f32 v[12:13], v[10:11], v[30:31], v[12:13] op_sel_hi:[1,0,1] neg_lo:[1,0,0] neg_hi:[1,0,0]
	v_pk_fma_f32 v[14:15], v[18:19], v[30:31], v[14:15] op_sel_hi:[1,0,1] neg_lo:[1,0,0] neg_hi:[1,0,0]
	v_pk_add_f32 v[20:21], v[38:39], v[10:11] neg_lo:[0,1] neg_hi:[0,1]
	v_pk_add_f32 v[26:27], v[48:49], v[18:19] neg_lo:[0,1] neg_hi:[0,1]
	s_delay_alu instid0(VALU_DEP_4) | instskip(NEXT) | instid1(VALU_DEP_4)
	v_pk_fma_f32 v[10:11], v[10:11], v[30:31], v[12:13] op_sel:[1,1,0] op_sel_hi:[0,1,1] neg_hi:[1,0,0]
	v_pk_fma_f32 v[12:13], v[18:19], v[30:31], v[14:15] op_sel:[1,1,0] op_sel_hi:[0,1,1] neg_hi:[1,0,0]
	global_store_b64 v[34:35], v[20:21], off
	s_wait_loadcnt 0x0
	v_pk_fma_f32 v[24:25], v[46:47], v[30:31], v[40:41] op_sel_hi:[1,0,1] neg_lo:[1,0,0] neg_hi:[1,0,0]
	s_delay_alu instid0(VALU_DEP_1)
	v_pk_fma_f32 v[14:15], v[46:47], v[30:31], v[24:25] op_sel:[1,1,0] op_sel_hi:[0,1,1] neg_hi:[1,0,0]
	s_clause 0x1
	global_store_b64 v[28:29], v[26:27], off
	global_store_b64 v[6:7], v[8:9], off
	;; [unrolled: 1-line block ×6, first 2 shown]
.LBB7_22:
	s_wait_xcnt 0x0
	s_or_b32 exec_lo, exec_lo, s4
.LBB7_23:
	s_cmp_lt_i32 s16, 1
	s_cbranch_scc1 .LBB7_36
; %bb.24:
	s_wait_xcnt 0x0
	s_load_b64 s[0:1], s[0:1], 0x38
	s_add_co_i32 s2, s16, 3
	s_add_co_i32 s3, s16, 2
	v_mad_u32 v5, s18, s2, v0
	v_mad_u32 v6, s18, s3, v0
	s_add_co_i32 s2, s16, 1
	s_add_co_i32 s3, s16, -1
	v_mad_u32 v4, s18, s16, v0
	v_mad_u32 v7, s18, s2, v0
	;; [unrolled: 1-line block ×4, first 2 shown]
	s_mov_b32 s2, s16
	s_branch .LBB7_26
.LBB7_25:                               ;   in Loop: Header=BB7_26 Depth=1
	s_wait_kmcnt 0x0
	global_load_b64 v[12:13], v10, s[12:13] scale_offset
	v_lshl_add_u64 v[2:3], v[2:3], 3, s[6:7]
	v_subrev_nc_u32_e32 v4, s18, v4
	v_subrev_nc_u32_e32 v5, s18, v5
	;; [unrolled: 1-line block ×4, first 2 shown]
	global_load_b64 v[2:3], v[2:3], off
	v_subrev_nc_u32_e32 v8, s18, v8
	v_subrev_nc_u32_e32 v9, s17, v9
	s_add_co_i32 s3, s2, -1
	s_cmp_gt_u32 s2, 1
	s_mov_b32 s2, s3
	s_wait_loadcnt 0x1
	v_mul_f32_e32 v11, v13, v13
	s_delay_alu instid0(VALU_DEP_1) | instskip(SKIP_2) | instid1(VALU_DEP_2)
	v_fmac_f32_e32 v11, v12, v12
	s_wait_loadcnt 0x0
	v_pk_add_f32 v[0:1], v[2:3], v[0:1] neg_lo:[0,1] neg_hi:[0,1]
	v_div_scale_f32 v14, null, v11, v11, 1.0
	v_div_scale_f32 v17, vcc_lo, 1.0, v11, 1.0
	s_wait_xcnt 0x0
	s_delay_alu instid0(VALU_DEP_3) | instskip(NEXT) | instid1(VALU_DEP_3)
	v_pk_mul_f32 v[2:3], v[12:13], v[0:1] op_sel:[1,1] op_sel_hi:[1,0] neg_hi:[0,1]
	v_rcp_f32_e32 v15, v14
	s_delay_alu instid0(VALU_DEP_1) | instskip(NEXT) | instid1(TRANS32_DEP_1)
	v_pk_fma_f32 v[0:1], v[0:1], v[12:13], v[2:3] op_sel_hi:[1,0,1]
	v_fma_f32 v16, -v14, v15, 1.0
	s_delay_alu instid0(VALU_DEP_1) | instskip(NEXT) | instid1(VALU_DEP_1)
	v_fmac_f32_e32 v15, v16, v15
	v_mul_f32_e32 v16, v17, v15
	s_delay_alu instid0(VALU_DEP_1) | instskip(NEXT) | instid1(VALU_DEP_1)
	v_fma_f32 v18, -v14, v16, v17
	v_fmac_f32_e32 v16, v18, v15
	s_delay_alu instid0(VALU_DEP_1) | instskip(NEXT) | instid1(VALU_DEP_1)
	v_fma_f32 v14, -v14, v16, v17
	v_div_fmas_f32 v14, v14, v15, v16
	s_delay_alu instid0(VALU_DEP_1) | instskip(NEXT) | instid1(VALU_DEP_1)
	v_div_fixup_f32 v2, v14, v11, 1.0
	v_pk_mul_f32 v[0:1], v[2:3], v[0:1] op_sel_hi:[0,1]
	global_store_b64 v10, v[0:1], s[0:1] scale_offset
	s_cbranch_scc0 .LBB7_36
.LBB7_26:                               ; =>This Inner Loop Header: Depth=1
	s_wait_xcnt 0x0
	s_delay_alu instid0(VALU_DEP_2)
	v_add_nc_u32_e32 v10, s5, v8
	s_cmp_ge_i32 s2, s16
	s_cbranch_scc1 .LBB7_32
; %bb.27:                               ;   in Loop: Header=BB7_26 Depth=1
	v_add_nc_u32_e32 v11, s5, v4
	s_wait_kmcnt 0x0
	global_load_b64 v[0:1], v10, s[14:15] scale_offset
	global_load_b64 v[2:3], v11, s[0:1] scale_offset
	s_wait_loadcnt 0x0
	v_pk_mul_f32 v[12:13], v[2:3], v[0:1] op_sel:[1,1] op_sel_hi:[1,0] neg_lo:[0,1]
	s_delay_alu instid0(VALU_DEP_1) | instskip(NEXT) | instid1(VALU_DEP_1)
	v_pk_fma_f32 v[0:1], v[0:1], v[2:3], v[12:13] op_sel_hi:[1,0,1]
	v_pk_add_f32 v[0:1], v[0:1], 0 op_sel_hi:[1,0]
	s_add_co_i32 s3, s2, 1
	s_delay_alu instid0(SALU_CYCLE_1)
	s_cmp_ge_i32 s3, s16
	s_cbranch_scc1 .LBB7_29
.LBB7_28:                               ;   in Loop: Header=BB7_26 Depth=1
	s_wait_xcnt 0x0
	v_add_nc_u32_e32 v11, s5, v7
	s_wait_kmcnt 0x0
	global_load_b64 v[2:3], v10, s[20:21] scale_offset
	global_load_b64 v[12:13], v11, s[0:1] scale_offset
	s_wait_loadcnt 0x0
	v_pk_mul_f32 v[14:15], v[12:13], v[2:3] op_sel:[1,1] op_sel_hi:[1,0] neg_lo:[0,1]
	s_delay_alu instid0(VALU_DEP_1) | instskip(NEXT) | instid1(VALU_DEP_1)
	v_pk_fma_f32 v[2:3], v[2:3], v[12:13], v[14:15] op_sel_hi:[1,0,1]
	v_pk_add_f32 v[0:1], v[0:1], v[2:3]
.LBB7_29:                               ;   in Loop: Header=BB7_26 Depth=1
	v_add_nc_u32_e32 v2, s5, v9
	s_add_co_i32 s3, s3, 1
	s_mov_b32 s4, -1
	s_cmp_lt_i32 s3, s16
	s_cbranch_scc0 .LBB7_33
; %bb.30:                               ;   in Loop: Header=BB7_26 Depth=1
	s_and_not1_b32 vcc_lo, exec_lo, s4
	s_cbranch_vccz .LBB7_34
.LBB7_31:                               ;   in Loop: Header=BB7_26 Depth=1
	s_add_co_i32 s3, s3, 1
	s_delay_alu instid0(SALU_CYCLE_1)
	s_cmp_ge_i32 s3, s16
	s_cbranch_scc1 .LBB7_25
	s_branch .LBB7_35
.LBB7_32:                               ;   in Loop: Header=BB7_26 Depth=1
	v_mov_b64_e32 v[0:1], 0
	s_add_co_i32 s3, s2, 1
	s_delay_alu instid0(SALU_CYCLE_1)
	s_cmp_ge_i32 s3, s16
	s_cbranch_scc0 .LBB7_28
	s_branch .LBB7_29
.LBB7_33:                               ;   in Loop: Header=BB7_26 Depth=1
	v_ashrrev_i32_e32 v3, 31, v2
	s_cbranch_execnz .LBB7_31
.LBB7_34:                               ;   in Loop: Header=BB7_26 Depth=1
	v_add_nc_u32_e32 v3, s5, v6
	s_wait_kmcnt 0x0
	global_load_b64 v[12:13], v2, s[8:9] scale_offset
	global_load_b64 v[14:15], v3, s[0:1] scale_offset
	s_wait_xcnt 0x0
	v_ashrrev_i32_e32 v3, 31, v2
	s_wait_loadcnt 0x0
	v_pk_mul_f32 v[16:17], v[14:15], v[12:13] op_sel:[1,1] op_sel_hi:[1,0] neg_lo:[0,1]
	s_delay_alu instid0(VALU_DEP_1) | instskip(NEXT) | instid1(VALU_DEP_1)
	v_pk_fma_f32 v[12:13], v[12:13], v[14:15], v[16:17] op_sel_hi:[1,0,1]
	v_pk_add_f32 v[0:1], v[0:1], v[12:13]
	s_add_co_i32 s3, s3, 1
	s_delay_alu instid0(SALU_CYCLE_1)
	s_cmp_ge_i32 s3, s16
	s_cbranch_scc1 .LBB7_25
.LBB7_35:                               ;   in Loop: Header=BB7_26 Depth=1
	s_wait_kmcnt 0x0
	v_lshl_add_u64 v[12:13], v[2:3], 3, s[10:11]
	v_add_nc_u32_e32 v11, s5, v5
	global_load_b64 v[14:15], v[12:13], off
	global_load_b64 v[16:17], v11, s[0:1] scale_offset
	s_wait_loadcnt 0x0
	s_wait_xcnt 0x1
	v_pk_mul_f32 v[12:13], v[16:17], v[14:15] op_sel:[1,1] op_sel_hi:[1,0] neg_lo:[0,1]
	s_delay_alu instid0(VALU_DEP_1) | instskip(NEXT) | instid1(VALU_DEP_1)
	v_pk_fma_f32 v[12:13], v[14:15], v[16:17], v[12:13] op_sel_hi:[1,0,1]
	v_pk_add_f32 v[0:1], v[0:1], v[12:13]
	s_branch .LBB7_25
.LBB7_36:
	s_sendmsg sendmsg(MSG_DEALLOC_VGPRS)
	s_endpgm
	.section	.rodata,"a",@progbits
	.p2align	6, 0x0
	.amdhsa_kernel _ZN9rocsparseL44gpsv_interleaved_batch_householder_qr_kernelILj256E21rocsparse_complex_numIfEEEviiiPT0_S4_S4_S4_S4_S4_S4_S4_S4_
		.amdhsa_group_segment_fixed_size 0
		.amdhsa_private_segment_fixed_size 0
		.amdhsa_kernarg_size 344
		.amdhsa_user_sgpr_count 2
		.amdhsa_user_sgpr_dispatch_ptr 0
		.amdhsa_user_sgpr_queue_ptr 0
		.amdhsa_user_sgpr_kernarg_segment_ptr 1
		.amdhsa_user_sgpr_dispatch_id 0
		.amdhsa_user_sgpr_kernarg_preload_length 0
		.amdhsa_user_sgpr_kernarg_preload_offset 0
		.amdhsa_user_sgpr_private_segment_size 0
		.amdhsa_wavefront_size32 1
		.amdhsa_uses_dynamic_stack 0
		.amdhsa_enable_private_segment 0
		.amdhsa_system_sgpr_workgroup_id_x 1
		.amdhsa_system_sgpr_workgroup_id_y 0
		.amdhsa_system_sgpr_workgroup_id_z 0
		.amdhsa_system_sgpr_workgroup_info 0
		.amdhsa_system_vgpr_workitem_id 0
		.amdhsa_next_free_vgpr 76
		.amdhsa_next_free_sgpr 28
		.amdhsa_named_barrier_count 0
		.amdhsa_reserve_vcc 1
		.amdhsa_float_round_mode_32 0
		.amdhsa_float_round_mode_16_64 0
		.amdhsa_float_denorm_mode_32 3
		.amdhsa_float_denorm_mode_16_64 3
		.amdhsa_fp16_overflow 0
		.amdhsa_memory_ordered 1
		.amdhsa_forward_progress 1
		.amdhsa_inst_pref_size 51
		.amdhsa_round_robin_scheduling 0
		.amdhsa_exception_fp_ieee_invalid_op 0
		.amdhsa_exception_fp_denorm_src 0
		.amdhsa_exception_fp_ieee_div_zero 0
		.amdhsa_exception_fp_ieee_overflow 0
		.amdhsa_exception_fp_ieee_underflow 0
		.amdhsa_exception_fp_ieee_inexact 0
		.amdhsa_exception_int_div_zero 0
	.end_amdhsa_kernel
	.section	.text._ZN9rocsparseL44gpsv_interleaved_batch_householder_qr_kernelILj256E21rocsparse_complex_numIfEEEviiiPT0_S4_S4_S4_S4_S4_S4_S4_S4_,"axG",@progbits,_ZN9rocsparseL44gpsv_interleaved_batch_householder_qr_kernelILj256E21rocsparse_complex_numIfEEEviiiPT0_S4_S4_S4_S4_S4_S4_S4_S4_,comdat
.Lfunc_end7:
	.size	_ZN9rocsparseL44gpsv_interleaved_batch_householder_qr_kernelILj256E21rocsparse_complex_numIfEEEviiiPT0_S4_S4_S4_S4_S4_S4_S4_S4_, .Lfunc_end7-_ZN9rocsparseL44gpsv_interleaved_batch_householder_qr_kernelILj256E21rocsparse_complex_numIfEEEviiiPT0_S4_S4_S4_S4_S4_S4_S4_S4_
                                        ; -- End function
	.set _ZN9rocsparseL44gpsv_interleaved_batch_householder_qr_kernelILj256E21rocsparse_complex_numIfEEEviiiPT0_S4_S4_S4_S4_S4_S4_S4_S4_.num_vgpr, 76
	.set _ZN9rocsparseL44gpsv_interleaved_batch_householder_qr_kernelILj256E21rocsparse_complex_numIfEEEviiiPT0_S4_S4_S4_S4_S4_S4_S4_S4_.num_agpr, 0
	.set _ZN9rocsparseL44gpsv_interleaved_batch_householder_qr_kernelILj256E21rocsparse_complex_numIfEEEviiiPT0_S4_S4_S4_S4_S4_S4_S4_S4_.numbered_sgpr, 28
	.set _ZN9rocsparseL44gpsv_interleaved_batch_householder_qr_kernelILj256E21rocsparse_complex_numIfEEEviiiPT0_S4_S4_S4_S4_S4_S4_S4_S4_.num_named_barrier, 0
	.set _ZN9rocsparseL44gpsv_interleaved_batch_householder_qr_kernelILj256E21rocsparse_complex_numIfEEEviiiPT0_S4_S4_S4_S4_S4_S4_S4_S4_.private_seg_size, 0
	.set _ZN9rocsparseL44gpsv_interleaved_batch_householder_qr_kernelILj256E21rocsparse_complex_numIfEEEviiiPT0_S4_S4_S4_S4_S4_S4_S4_S4_.uses_vcc, 1
	.set _ZN9rocsparseL44gpsv_interleaved_batch_householder_qr_kernelILj256E21rocsparse_complex_numIfEEEviiiPT0_S4_S4_S4_S4_S4_S4_S4_S4_.uses_flat_scratch, 0
	.set _ZN9rocsparseL44gpsv_interleaved_batch_householder_qr_kernelILj256E21rocsparse_complex_numIfEEEviiiPT0_S4_S4_S4_S4_S4_S4_S4_S4_.has_dyn_sized_stack, 0
	.set _ZN9rocsparseL44gpsv_interleaved_batch_householder_qr_kernelILj256E21rocsparse_complex_numIfEEEviiiPT0_S4_S4_S4_S4_S4_S4_S4_S4_.has_recursion, 0
	.set _ZN9rocsparseL44gpsv_interleaved_batch_householder_qr_kernelILj256E21rocsparse_complex_numIfEEEviiiPT0_S4_S4_S4_S4_S4_S4_S4_S4_.has_indirect_call, 0
	.section	.AMDGPU.csdata,"",@progbits
; Kernel info:
; codeLenInByte = 6496
; TotalNumSgprs: 30
; NumVgprs: 76
; ScratchSize: 0
; MemoryBound: 0
; FloatMode: 240
; IeeeMode: 1
; LDSByteSize: 0 bytes/workgroup (compile time only)
; SGPRBlocks: 0
; VGPRBlocks: 4
; NumSGPRsForWavesPerEU: 30
; NumVGPRsForWavesPerEU: 76
; NamedBarCnt: 0
; Occupancy: 12
; WaveLimiterHint : 0
; COMPUTE_PGM_RSRC2:SCRATCH_EN: 0
; COMPUTE_PGM_RSRC2:USER_SGPR: 2
; COMPUTE_PGM_RSRC2:TRAP_HANDLER: 0
; COMPUTE_PGM_RSRC2:TGID_X_EN: 1
; COMPUTE_PGM_RSRC2:TGID_Y_EN: 0
; COMPUTE_PGM_RSRC2:TGID_Z_EN: 0
; COMPUTE_PGM_RSRC2:TIDIG_COMP_CNT: 0
	.section	.text._ZN9rocsparseL39gpsv_interleaved_batch_givens_qr_kernelILj128E21rocsparse_complex_numIfEEEviiiPT0_S4_S4_S4_S4_S4_S4_S4_,"axG",@progbits,_ZN9rocsparseL39gpsv_interleaved_batch_givens_qr_kernelILj128E21rocsparse_complex_numIfEEEviiiPT0_S4_S4_S4_S4_S4_S4_S4_,comdat
	.globl	_ZN9rocsparseL39gpsv_interleaved_batch_givens_qr_kernelILj128E21rocsparse_complex_numIfEEEviiiPT0_S4_S4_S4_S4_S4_S4_S4_ ; -- Begin function _ZN9rocsparseL39gpsv_interleaved_batch_givens_qr_kernelILj128E21rocsparse_complex_numIfEEEviiiPT0_S4_S4_S4_S4_S4_S4_S4_
	.p2align	8
	.type	_ZN9rocsparseL39gpsv_interleaved_batch_givens_qr_kernelILj128E21rocsparse_complex_numIfEEEviiiPT0_S4_S4_S4_S4_S4_S4_S4_,@function
_ZN9rocsparseL39gpsv_interleaved_batch_givens_qr_kernelILj128E21rocsparse_complex_numIfEEEviiiPT0_S4_S4_S4_S4_S4_S4_S4_: ; @_ZN9rocsparseL39gpsv_interleaved_batch_givens_qr_kernelILj128E21rocsparse_complex_numIfEEEviiiPT0_S4_S4_S4_S4_S4_S4_S4_
; %bb.0:
	s_load_b96 s[16:18], s[0:1], 0x0
	s_bfe_u32 s2, ttmp6, 0x4000c
	s_and_b32 s3, ttmp6, 15
	s_add_co_i32 s2, s2, 1
	s_getreg_b32 s4, hwreg(HW_REG_IB_STS2, 6, 4)
	s_mul_i32 s2, ttmp9, s2
	s_delay_alu instid0(SALU_CYCLE_1) | instskip(SKIP_2) | instid1(SALU_CYCLE_1)
	s_add_co_i32 s3, s3, s2
	s_cmp_eq_u32 s4, 0
	s_cselect_b32 s2, ttmp9, s3
	s_lshl_b32 s19, s2, 7
	s_mov_b32 s2, exec_lo
	v_or_b32_e32 v1, s19, v0
	s_wait_kmcnt 0x0
	s_delay_alu instid0(VALU_DEP_1)
	v_cmpx_gt_i32_e64 s17, v1
	s_cbranch_execz .LBB8_25
; %bb.1:
	s_clause 0x2
	s_load_b64 s[2:3], s[0:1], 0x48
	s_load_b128 s[12:15], s[0:1], 0x38
	s_load_b256 s[4:11], s[0:1], 0x18
	s_add_co_i32 s22, s16, -2
	s_cmp_lt_i32 s16, 3
	s_cbranch_scc1 .LBB8_16
; %bb.2:
	s_load_b64 s[20:21], s[0:1], 0x10
	v_dual_mov_b32 v4, v1 :: v_dual_mov_b32 v2, v1
	s_wait_xcnt 0x0
	s_lshl_b32 s1, s18, 1
	s_mov_b32 s23, s22
	s_branch .LBB8_4
.LBB8_3:                                ;   in Loop: Header=BB8_4 Depth=1
	s_or_b32 exec_lo, exec_lo, s24
	global_load_b64 v[26:27], v[10:11], off
	v_mul_f32_e32 v7, 0x4f800000, v3
	v_cmp_gt_f32_e32 vcc_lo, 0xf800000, v3
	v_ashrrev_i32_e32 v5, 31, v4
	v_mul_f32_e32 v47, 0x80000000, v36
	v_dual_mul_f32 v49, 0x80000000, v19 :: v_dual_mul_f32 v50, 0x80000000, v18
	v_cndmask_b32_e32 v3, v3, v7, vcc_lo
	s_delay_alu instid0(VALU_DEP_4) | instskip(SKIP_2) | instid1(VALU_DEP_3)
	v_lshl_add_u64 v[38:39], v[4:5], 3, s[2:3]
	v_lshlrev_b64_e32 v[52:53], 3, v[4:5]
	s_add_co_i32 s23, s23, -1
	v_sqrt_f32_e32 v7, v3
	global_load_b64 v[40:41], v[38:39], off
	s_cmp_eq_u32 s23, 0
	v_nop
	v_dual_add_nc_u32 v9, -1, v7 :: v_dual_add_nc_u32 v42, 1, v7
	s_delay_alu instid0(VALU_DEP_1) | instskip(NEXT) | instid1(VALU_DEP_1)
	v_dual_fma_f32 v43, -v9, v7, v3 :: v_dual_fma_f32 v44, -v42, v7, v3
	v_cmp_ge_f32_e64 s0, 0, v43
	s_delay_alu instid0(VALU_DEP_1) | instskip(NEXT) | instid1(VALU_DEP_3)
	v_cndmask_b32_e64 v7, v7, v9, s0
	v_cmp_lt_f32_e64 s0, 0, v44
	s_delay_alu instid0(VALU_DEP_1) | instskip(NEXT) | instid1(VALU_DEP_1)
	v_cndmask_b32_e64 v7, v7, v42, s0
	v_mul_f32_e32 v9, 0x37800000, v7
	s_delay_alu instid0(VALU_DEP_1) | instskip(SKIP_1) | instid1(VALU_DEP_1)
	v_cndmask_b32_e32 v7, v7, v9, vcc_lo
	v_cmp_class_f32_e64 vcc_lo, v3, 0x260
	v_dual_ashrrev_i32 v9, 31, v8 :: v_dual_cndmask_b32 v7, v7, v3, vcc_lo
	s_delay_alu instid0(VALU_DEP_1) | instskip(NEXT) | instid1(VALU_DEP_1)
	v_fma_f32 v43, v7, v7, 0
	v_div_scale_f32 v42, null, v43, v43, 1.0
	v_div_scale_f32 v45, vcc_lo, 1.0, v43, 1.0
	s_delay_alu instid0(VALU_DEP_2) | instskip(SKIP_1) | instid1(TRANS32_DEP_1)
	v_rcp_f32_e32 v44, v42
	v_nop
	v_fma_f32 v3, -v42, v44, 1.0
	s_delay_alu instid0(VALU_DEP_1) | instskip(NEXT) | instid1(VALU_DEP_1)
	v_fmac_f32_e32 v44, v3, v44
	v_mul_f32_e32 v46, v45, v44
	s_delay_alu instid0(VALU_DEP_1) | instskip(NEXT) | instid1(VALU_DEP_1)
	v_fma_f32 v3, -v42, v46, v45
	v_dual_fmac_f32 v46, v3, v44 :: v_dual_ashrrev_i32 v3, 31, v2
	v_dual_fma_f32 v48, -v37, v7, v47 :: v_dual_fma_f32 v54, -v19, v7, v50
	s_delay_alu instid0(VALU_DEP_2) | instskip(NEXT) | instid1(VALU_DEP_3)
	v_dual_mov_b32 v47, v24 :: v_dual_fma_f32 v45, -v42, v46, v45
	v_lshl_add_u64 v[4:5], v[2:3], 3, s[14:15]
	v_xor_b32_e32 v42, 0x80000000, v19
	v_lshl_add_u64 v[64:65], v[2:3], 3, s[12:13]
	v_mov_b32_e32 v2, v8
	v_div_fmas_f32 v46, v45, v44, v46
	v_mov_b32_e32 v45, v36
	v_xor_b32_e32 v44, 0x80000000, v37
	s_delay_alu instid0(VALU_DEP_3) | instskip(SKIP_1) | instid1(VALU_DEP_2)
	v_div_fixup_f32 v55, v46, v43, 1.0
	v_xor_b32_e32 v46, 0x80000000, v25
	v_dual_mov_b32 v43, v18 :: v_dual_mul_f32 v48, v48, v55
	s_delay_alu instid0(VALU_DEP_1) | instskip(SKIP_2) | instid1(VALU_DEP_2)
	v_pk_mul_f32 v[46:47], v[48:49], v[46:47] op_sel_hi:[0,1]
	v_fmac_f32_e32 v49, v18, v7
	v_dual_mul_f32 v51, 0x80000000, v37 :: v_dual_mul_f32 v54, v54, v55
	v_mul_f32_e32 v56, v49, v55
	s_delay_alu instid0(VALU_DEP_2) | instskip(SKIP_1) | instid1(VALU_DEP_4)
	v_fmac_f32_e32 v51, v36, v7
	v_pk_mul_f32 v[44:45], v[48:49], v[44:45] op_sel_hi:[0,1]
	v_pk_mul_f32 v[58:59], v[22:23], v[54:55] op_sel_hi:[1,0] neg_lo:[0,1]
	v_pk_mul_f32 v[60:61], v[48:49], v[22:23] op_sel:[0,1] op_sel_hi:[0,0] neg_lo:[0,1]
	s_delay_alu instid0(VALU_DEP_4) | instskip(NEXT) | instid1(VALU_DEP_3)
	v_mul_f32_e32 v50, v51, v55
	v_pk_fma_f32 v[58:59], v[22:23], v[56:57], v[58:59] op_sel:[0,0,1] op_sel_hi:[1,0,0]
	s_delay_alu instid0(VALU_DEP_2)
	v_pk_fma_f32 v[46:47], v[24:25], v[50:51], v[46:47] op_sel_hi:[1,0,1]
	v_pk_fma_f32 v[36:37], v[36:37], v[50:51], v[44:45] op_sel_hi:[1,0,1]
	;; [unrolled: 1-line block ×3, first 2 shown]
	v_pk_mul_f32 v[44:45], v[32:33], v[54:55] op_sel_hi:[1,0] neg_lo:[0,1]
	v_pk_mul_f32 v[60:61], v[48:49], v[32:33] op_sel:[0,1] op_sel_hi:[0,0] neg_lo:[0,1]
	global_store_b64 v[4:5], v[46:47], off
	s_wait_xcnt 0x0
	v_pk_mul_f32 v[4:5], v[34:35], v[54:55] op_sel_hi:[1,0] neg_lo:[0,1]
	v_pk_mul_f32 v[46:47], v[48:49], v[34:35] op_sel:[0,1] op_sel_hi:[0,0] neg_lo:[0,1]
	v_pk_fma_f32 v[18:19], v[18:19], v[56:57], v[36:37] op_sel_hi:[1,0,1]
	s_wait_loadcnt 0x3
	v_pk_fma_f32 v[22:23], v[30:31], v[56:57], v[22:23] op_sel_hi:[1,0,1]
	v_pk_fma_f32 v[44:45], v[32:33], v[56:57], v[44:45] op_sel:[0,0,1] op_sel_hi:[1,0,0]
	v_pk_fma_f32 v[62:63], v[34:35], v[56:57], v[4:5] op_sel:[0,0,1] op_sel_hi:[1,0,0]
	v_pk_fma_f32 v[34:35], v[34:35], v[50:51], v[46:47] op_sel_hi:[1,0,1]
	v_pk_mul_f32 v[46:47], v[54:55], v[24:25] op_sel_hi:[0,1] neg_lo:[1,0]
	v_mov_b32_e32 v4, v6
	v_pk_fma_f32 v[18:19], v[42:43], v[54:55], v[18:19] op_sel_hi:[1,0,1]
	v_pk_fma_f32 v[22:23], v[30:31], v[54:55], v[22:23] op_sel:[1,0,0] op_sel_hi:[0,0,1] neg_lo:[1,0,0]
	v_pk_fma_f32 v[32:33], v[32:33], v[50:51], v[60:61] op_sel_hi:[1,0,1]
	v_pk_fma_f32 v[6:7], v[24:25], v[56:57], v[46:47] op_sel:[0,0,1] op_sel_hi:[1,0,0]
	v_pk_fma_f32 v[46:47], v[30:31], v[50:51], v[58:59] op_sel_hi:[1,0,1] neg_lo:[1,0,0] neg_hi:[1,0,0]
	v_lshl_add_u64 v[60:61], v[8:9], 3, s[12:13]
	v_add_nc_u64_e32 v[8:9], s[6:7], v[52:53]
	v_add_nc_u64_e32 v[24:25], s[8:9], v[52:53]
	;; [unrolled: 1-line block ×3, first 2 shown]
	v_pk_fma_f32 v[42:43], v[30:31], v[48:49], v[46:47] op_sel:[1,0,0] op_sel_hi:[0,0,1] neg_lo:[0,1,0]
	s_wait_loadcnt 0x2
	v_pk_fma_f32 v[52:53], v[28:29], v[50:51], v[62:63] op_sel_hi:[1,0,1] neg_lo:[1,0,0] neg_hi:[1,0,0]
	v_pk_fma_f32 v[34:35], v[28:29], v[56:57], v[34:35] op_sel_hi:[1,0,1]
	v_pk_fma_f32 v[44:45], v[20:21], v[50:51], v[44:45] op_sel_hi:[1,0,1] neg_lo:[1,0,0] neg_hi:[1,0,0]
	v_pk_fma_f32 v[32:33], v[20:21], v[56:57], v[32:33] op_sel_hi:[1,0,1]
	s_clause 0x1
	global_store_b64 v[8:9], v[18:19], off
	global_store_b64 v[12:13], v[42:43], off
	v_pk_fma_f32 v[52:53], v[28:29], v[48:49], v[52:53] op_sel:[1,0,0] op_sel_hi:[0,0,1] neg_lo:[0,1,0]
	v_pk_fma_f32 v[28:29], v[28:29], v[54:55], v[34:35] op_sel:[1,0,0] op_sel_hi:[0,0,1] neg_lo:[1,0,0]
	;; [unrolled: 1-line block ×4, first 2 shown]
	s_clause 0x1
	global_store_b64 v[24:25], v[22:23], off
	global_store_b64 v[14:15], v[52:53], off
	;; [unrolled: 1-line block ×3, first 2 shown]
	s_wait_loadcnt 0x1
	v_pk_mul_f32 v[30:31], v[48:49], v[26:27] op_sel:[0,1] op_sel_hi:[0,0] neg_lo:[0,1]
	v_pk_mul_f32 v[46:47], v[54:55], v[26:27] op_sel_hi:[0,1] neg_lo:[1,0]
	s_delay_alu instid0(VALU_DEP_2) | instskip(NEXT) | instid1(VALU_DEP_2)
	v_pk_fma_f32 v[30:31], v[26:27], v[50:51], v[30:31] op_sel_hi:[1,0,1]
	v_pk_fma_f32 v[26:27], v[26:27], v[56:57], v[46:47] op_sel:[0,0,1] op_sel_hi:[1,0,0]
	s_wait_loadcnt 0x0
	s_wait_xcnt 0x4
	s_delay_alu instid0(VALU_DEP_2) | instskip(SKIP_2) | instid1(VALU_DEP_2)
	v_pk_fma_f32 v[8:9], v[40:41], v[56:57], v[30:31] op_sel_hi:[1,0,1]
	s_wait_xcnt 0x3
	v_pk_fma_f32 v[12:13], v[40:41], v[50:51], v[26:27] op_sel_hi:[1,0,1] neg_lo:[1,0,0] neg_hi:[1,0,0]
	v_pk_fma_f32 v[8:9], v[40:41], v[54:55], v[8:9] op_sel:[1,0,0] op_sel_hi:[0,0,1] neg_lo:[1,0,0]
	s_delay_alu instid0(VALU_DEP_2)
	v_pk_fma_f32 v[12:13], v[40:41], v[48:49], v[12:13] op_sel:[1,0,0] op_sel_hi:[0,0,1] neg_lo:[0,1,0]
	global_store_b64 v[16:17], v[34:35], off
	s_clause 0x1
	global_store_b64 v[64:65], v[20:21], off
	global_store_b64 v[60:61], v[6:7], off
	s_clause 0x1
	global_store_b64 v[38:39], v[8:9], off
	global_store_b64 v[10:11], v[12:13], off
	s_cbranch_scc1 .LBB8_16
.LBB8_4:                                ; =>This Inner Loop Header: Depth=1
	s_wait_xcnt 0x0
	v_dual_add_nc_u32 v12, s1, v4 :: v_dual_add_nc_u32 v6, s18, v4
                                        ; implicit-def: $vgpr7
	s_mov_b32 s0, exec_lo
	s_wait_kmcnt 0x0
	global_load_b64 v[40:41], v12, s[20:21] scale_offset
	s_clause 0x3
	global_load_b64 v[38:39], v6, s[4:5] scale_offset
	global_load_b64 v[36:37], v12, s[4:5] scale_offset
	;; [unrolled: 1-line block ×4, first 2 shown]
	s_clause 0x3
	global_load_b64 v[26:27], v6, s[6:7] scale_offset
	global_load_b64 v[28:29], v6, s[8:9] scale_offset
	;; [unrolled: 1-line block ×4, first 2 shown]
	s_wait_loadcnt 0x8
	v_dual_mul_f32 v5, v40, -v41 :: v_dual_mul_f32 v3, v41, v41
	s_delay_alu instid0(VALU_DEP_1) | instskip(SKIP_1) | instid1(VALU_DEP_1)
	v_dual_fmac_f32 v5, v41, v40 :: v_dual_fmac_f32 v3, v40, v40
	s_wait_loadcnt 0x7
	v_dual_fmac_f32 v5, v39, v38 :: v_dual_fmac_f32 v3, v38, v38
	s_delay_alu instid0(VALU_DEP_1) | instskip(NEXT) | instid1(VALU_DEP_1)
	v_dual_fma_f32 v8, v38, -v39, v5 :: v_dual_fmac_f32 v3, v39, v39
	v_cmp_gt_f32_e32 vcc_lo, 0, v8
	v_cndmask_b32_e64 v5, v8, -v8, vcc_lo
	s_wait_xcnt 0x0
	s_delay_alu instid0(VALU_DEP_1)
	v_cmpx_ngt_f32_e32 v3, v5
	s_xor_b32 s24, exec_lo, s0
	s_cbranch_execz .LBB8_8
; %bb.5:                                ;   in Loop: Header=BB8_4 Depth=1
	v_mov_b32_e32 v7, 0
	s_mov_b32 s25, exec_lo
	v_cmpx_neq_f32_e32 0, v8
	s_cbranch_execz .LBB8_7
; %bb.6:                                ;   in Loop: Header=BB8_4 Depth=1
	v_div_scale_f32 v7, null, v5, v5, v3
	v_div_scale_f32 v10, vcc_lo, v3, v5, v3
	s_delay_alu instid0(VALU_DEP_2) | instskip(SKIP_1) | instid1(TRANS32_DEP_1)
	v_rcp_f32_e32 v8, v7
	v_nop
	v_fma_f32 v9, -v7, v8, 1.0
	s_delay_alu instid0(VALU_DEP_1) | instskip(NEXT) | instid1(VALU_DEP_1)
	v_fmac_f32_e32 v8, v9, v8
	v_mul_f32_e32 v9, v10, v8
	s_delay_alu instid0(VALU_DEP_1) | instskip(NEXT) | instid1(VALU_DEP_1)
	v_fma_f32 v11, -v7, v9, v10
	v_fmac_f32_e32 v9, v11, v8
	s_delay_alu instid0(VALU_DEP_1) | instskip(NEXT) | instid1(VALU_DEP_1)
	v_fma_f32 v7, -v7, v9, v10
	v_div_fmas_f32 v7, v7, v8, v9
	s_delay_alu instid0(VALU_DEP_1) | instskip(NEXT) | instid1(VALU_DEP_1)
	v_div_fixup_f32 v3, v7, v5, v3
	v_fma_f32 v3, v3, v3, 1.0
	s_delay_alu instid0(VALU_DEP_1) | instskip(SKIP_1) | instid1(VALU_DEP_2)
	v_mul_f32_e32 v7, 0x4f800000, v3
	v_cmp_gt_f32_e32 vcc_lo, 0xf800000, v3
	v_cndmask_b32_e32 v3, v3, v7, vcc_lo
	s_delay_alu instid0(VALU_DEP_1) | instskip(SKIP_1) | instid1(TRANS32_DEP_1)
	v_sqrt_f32_e32 v7, v3
	v_nop
	v_dual_add_nc_u32 v8, -1, v7 :: v_dual_add_nc_u32 v9, 1, v7
	s_delay_alu instid0(VALU_DEP_1) | instskip(NEXT) | instid1(VALU_DEP_1)
	v_fma_f32 v10, -v8, v7, v3
	v_cmp_ge_f32_e64 s0, 0, v10
	s_delay_alu instid0(VALU_DEP_1) | instskip(NEXT) | instid1(VALU_DEP_1)
	v_dual_fma_f32 v11, -v9, v7, v3 :: v_dual_cndmask_b32 v7, v7, v8, s0
	v_cmp_lt_f32_e64 s0, 0, v11
	s_delay_alu instid0(VALU_DEP_1) | instskip(NEXT) | instid1(VALU_DEP_1)
	v_cndmask_b32_e64 v7, v7, v9, s0
	v_mul_f32_e32 v8, 0x37800000, v7
	s_delay_alu instid0(VALU_DEP_1) | instskip(SKIP_1) | instid1(VALU_DEP_2)
	v_cndmask_b32_e32 v7, v7, v8, vcc_lo
	v_cmp_class_f32_e64 vcc_lo, v3, 0x260
	v_cndmask_b32_e32 v3, v7, v3, vcc_lo
	s_delay_alu instid0(VALU_DEP_1)
	v_mul_f32_e32 v7, v5, v3
.LBB8_7:                                ;   in Loop: Header=BB8_4 Depth=1
	s_or_b32 exec_lo, exec_lo, s25
                                        ; implicit-def: $vgpr3
                                        ; implicit-def: $vgpr5
.LBB8_8:                                ;   in Loop: Header=BB8_4 Depth=1
	s_and_not1_saveexec_b32 s24, s24
	s_cbranch_execz .LBB8_10
; %bb.9:                                ;   in Loop: Header=BB8_4 Depth=1
	v_div_scale_f32 v7, null, v3, v3, v5
	v_div_scale_f32 v10, vcc_lo, v5, v3, v5
	s_delay_alu instid0(VALU_DEP_2) | instskip(SKIP_1) | instid1(TRANS32_DEP_1)
	v_rcp_f32_e32 v8, v7
	v_nop
	v_fma_f32 v9, -v7, v8, 1.0
	s_delay_alu instid0(VALU_DEP_1) | instskip(NEXT) | instid1(VALU_DEP_1)
	v_fmac_f32_e32 v8, v9, v8
	v_mul_f32_e32 v9, v10, v8
	s_delay_alu instid0(VALU_DEP_1) | instskip(NEXT) | instid1(VALU_DEP_1)
	v_fma_f32 v11, -v7, v9, v10
	v_fmac_f32_e32 v9, v11, v8
	s_delay_alu instid0(VALU_DEP_1) | instskip(NEXT) | instid1(VALU_DEP_1)
	v_fma_f32 v7, -v7, v9, v10
	v_div_fmas_f32 v7, v7, v8, v9
	s_delay_alu instid0(VALU_DEP_1) | instskip(NEXT) | instid1(VALU_DEP_1)
	v_div_fixup_f32 v5, v7, v3, v5
	v_fma_f32 v5, v5, v5, 1.0
	s_delay_alu instid0(VALU_DEP_1) | instskip(SKIP_1) | instid1(VALU_DEP_2)
	v_mul_f32_e32 v7, 0x4f800000, v5
	v_cmp_gt_f32_e32 vcc_lo, 0xf800000, v5
	v_cndmask_b32_e32 v5, v5, v7, vcc_lo
	s_delay_alu instid0(VALU_DEP_1) | instskip(SKIP_1) | instid1(TRANS32_DEP_1)
	v_sqrt_f32_e32 v7, v5
	v_nop
	v_dual_add_nc_u32 v8, -1, v7 :: v_dual_add_nc_u32 v9, 1, v7
	s_delay_alu instid0(VALU_DEP_1) | instskip(NEXT) | instid1(VALU_DEP_1)
	v_fma_f32 v10, -v8, v7, v5
	v_cmp_ge_f32_e64 s0, 0, v10
	s_delay_alu instid0(VALU_DEP_1) | instskip(NEXT) | instid1(VALU_DEP_1)
	v_dual_fma_f32 v11, -v9, v7, v5 :: v_dual_cndmask_b32 v7, v7, v8, s0
	v_cmp_lt_f32_e64 s0, 0, v11
	s_delay_alu instid0(VALU_DEP_1) | instskip(NEXT) | instid1(VALU_DEP_1)
	v_cndmask_b32_e64 v7, v7, v9, s0
	v_mul_f32_e32 v8, 0x37800000, v7
	s_delay_alu instid0(VALU_DEP_1) | instskip(SKIP_1) | instid1(VALU_DEP_2)
	v_cndmask_b32_e32 v7, v7, v8, vcc_lo
	v_cmp_class_f32_e64 vcc_lo, v5, 0x260
	v_cndmask_b32_e32 v5, v7, v5, vcc_lo
	s_delay_alu instid0(VALU_DEP_1)
	v_mul_f32_e32 v7, v3, v5
.LBB8_10:                               ;   in Loop: Header=BB8_4 Depth=1
	s_or_b32 exec_lo, exec_lo, s24
	s_delay_alu instid0(VALU_DEP_1) | instskip(SKIP_3) | instid1(VALU_DEP_4)
	v_mul_f32_e32 v3, 0x4f800000, v7
	v_cmp_gt_f32_e32 vcc_lo, 0xf800000, v7
	v_dual_mul_f32 v47, 0x80000000, v41 :: v_dual_mul_f32 v46, 0x80000000, v40
	v_dual_mul_f32 v34, 0x80000000, v39 :: v_dual_mul_f32 v35, 0x80000000, v38
	v_cndmask_b32_e32 v3, v7, v3, vcc_lo
	s_wait_loadcnt 0x6
	v_xor_b32_e32 v24, 0x80000000, v37
	s_wait_loadcnt 0x5
	v_xor_b32_e32 v30, 0x80000000, v19
	;; [unrolled: 2-line block ×3, first 2 shown]
	v_xor_b32_e32 v32, 0x80000000, v15
	v_sqrt_f32_e32 v5, v3
	v_dual_ashrrev_i32 v13, 31, v12 :: v_dual_mov_b32 v25, v36
	v_mov_b32_e32 v31, v18
	s_delay_alu instid0(VALU_DEP_2) | instskip(NEXT) | instid1(TRANS32_DEP_1)
	v_lshlrev_b64_e32 v[42:43], 3, v[12:13]
	v_dual_add_nc_u32 v7, -1, v5 :: v_dual_add_nc_u32 v8, 1, v5
	v_lshl_add_u64 v[50:51], v[12:13], 3, s[2:3]
	s_delay_alu instid0(VALU_DEP_2) | instskip(NEXT) | instid1(VALU_DEP_4)
	v_dual_fma_f32 v9, -v7, v5, v3 :: v_dual_fma_f32 v10, -v8, v5, v3
	v_add_nc_u64_e32 v[60:61], s[6:7], v[42:43]
	s_delay_alu instid0(VALU_DEP_2) | instskip(NEXT) | instid1(VALU_DEP_1)
	v_cmp_ge_f32_e64 s0, 0, v9
	v_cndmask_b32_e64 v5, v5, v7, s0
	s_delay_alu instid0(VALU_DEP_4) | instskip(NEXT) | instid1(VALU_DEP_1)
	v_cmp_lt_f32_e64 s0, 0, v10
	v_dual_cndmask_b32 v5, v5, v8, s0 :: v_dual_add_nc_u32 v8, s17, v2
	s_mov_b32 s0, exec_lo
	s_delay_alu instid0(VALU_DEP_1) | instskip(NEXT) | instid1(VALU_DEP_1)
	v_mul_f32_e32 v7, 0x37800000, v5
	v_cndmask_b32_e32 v5, v5, v7, vcc_lo
	v_cmp_class_f32_e64 vcc_lo, v3, 0x260
	s_delay_alu instid0(VALU_DEP_2) | instskip(NEXT) | instid1(VALU_DEP_1)
	v_cndmask_b32_e32 v3, v5, v3, vcc_lo
	v_fma_f32 v5, v3, v3, 0
	s_delay_alu instid0(VALU_DEP_1) | instskip(SKIP_1) | instid1(VALU_DEP_2)
	v_div_scale_f32 v9, null, v5, v5, 1.0
	v_div_scale_f32 v11, vcc_lo, 1.0, v5, 1.0
	v_rcp_f32_e32 v10, v9
	v_nop
	s_delay_alu instid0(TRANS32_DEP_1) | instskip(NEXT) | instid1(VALU_DEP_1)
	v_fma_f32 v7, -v9, v10, 1.0
	v_fmac_f32_e32 v10, v7, v10
	v_dual_ashrrev_i32 v7, 31, v6 :: v_dual_fma_f32 v46, -v41, v3, v46
	s_delay_alu instid0(VALU_DEP_2) | instskip(NEXT) | instid1(VALU_DEP_2)
	v_dual_fmac_f32 v34, v38, v3 :: v_dual_mul_f32 v33, v11, v10
	v_lshlrev_b64_e32 v[44:45], 3, v[6:7]
	s_delay_alu instid0(VALU_DEP_2) | instskip(NEXT) | instid1(VALU_DEP_2)
	v_fma_f32 v23, -v9, v33, v11
	v_add_nc_u64_e32 v[12:13], s[6:7], v[44:45]
	s_delay_alu instid0(VALU_DEP_2) | instskip(NEXT) | instid1(VALU_DEP_1)
	v_dual_fmac_f32 v33, v23, v10 :: v_dual_mov_b32 v23, v16
	v_fma_f32 v9, -v9, v33, v11
	s_delay_alu instid0(VALU_DEP_1)
	v_div_fmas_f32 v9, v9, v10, v33
	v_mov_b32_e32 v33, v14
	v_lshl_add_u64 v[10:11], v[6:7], 3, s[2:3]
	s_clause 0x1
	global_load_b64 v[56:57], v[50:51], off
	global_load_b64 v[58:59], v[10:11], off
	v_div_fixup_f32 v5, v9, v5, 1.0
	v_fma_f32 v9, -v39, v3, v35
	s_delay_alu instid0(VALU_DEP_2) | instskip(NEXT) | instid1(VALU_DEP_2)
	v_dual_fmac_f32 v47, v40, v3 :: v_dual_mul_f32 v46, v46, v5
	v_dual_mul_f32 v48, v9, v5 :: v_dual_mul_f32 v52, v34, v5
	s_delay_alu instid0(VALU_DEP_2) | instskip(NEXT) | instid1(VALU_DEP_3)
	v_mul_f32_e32 v54, v47, v5
	v_pk_mul_f32 v[24:25], v[46:47], v[24:25] op_sel_hi:[0,1]
	s_delay_alu instid0(VALU_DEP_3)
	v_pk_mul_f32 v[34:35], v[48:49], v[18:19] op_sel_hi:[0,1] neg_lo:[1,0]
	v_pk_mul_f32 v[30:31], v[46:47], v[30:31] op_sel_hi:[0,1]
	v_pk_mul_f32 v[62:63], v[46:47], v[22:23] op_sel_hi:[0,1]
	;; [unrolled: 1-line block ×3, first 2 shown]
	v_pk_fma_f32 v[24:25], v[36:37], v[54:55], v[24:25] op_sel_hi:[1,0,1]
	v_pk_fma_f32 v[34:35], v[18:19], v[52:53], v[34:35] op_sel:[0,0,1] op_sel_hi:[1,0,0]
	v_pk_fma_f32 v[30:31], v[18:19], v[54:55], v[30:31] op_sel_hi:[1,0,1]
	v_pk_mul_f32 v[18:19], v[48:49], v[14:15] op_sel_hi:[0,1] neg_lo:[1,0]
	v_pk_fma_f32 v[32:33], v[14:15], v[54:55], v[32:33] op_sel_hi:[1,0,1]
	v_pk_fma_f32 v[24:25], v[26:27], v[52:53], v[24:25] op_sel_hi:[1,0,1]
	v_pk_fma_f32 v[34:35], v[28:29], v[54:55], v[34:35] op_sel_hi:[1,0,1] neg_lo:[1,0,0] neg_hi:[1,0,0]
	v_pk_mul_f32 v[64:65], v[48:49], v[16:17] op_sel_hi:[0,1] neg_lo:[1,0]
	v_pk_fma_f32 v[30:31], v[28:29], v[52:53], v[30:31] op_sel_hi:[1,0,1]
	v_pk_fma_f32 v[32:33], v[20:21], v[52:53], v[32:33] op_sel_hi:[1,0,1]
	v_pk_fma_f32 v[22:23], v[26:27], v[48:49], v[24:25] op_sel:[1,0,0] op_sel_hi:[0,0,1] neg_lo:[1,0,0]
	v_pk_fma_f32 v[24:25], v[28:29], v[46:47], v[34:35] op_sel:[1,0,0] op_sel_hi:[0,0,1] neg_lo:[0,1,0]
	s_clause 0x1
	global_store_b64 v[12:13], v[22:23], off
	global_store_b64 v[60:61], v[24:25], off
	v_pk_fma_f32 v[34:35], v[14:15], v[52:53], v[18:19] op_sel:[0,0,1] op_sel_hi:[1,0,0]
	global_load_b64 v[18:19], v4, s[6:7] scale_offset
	s_wait_xcnt 0x1
	v_pk_fma_f32 v[24:25], v[16:17], v[54:55], v[62:63] op_sel_hi:[1,0,1]
	v_add_nc_u64_e32 v[14:15], s[8:9], v[44:45]
	v_pk_fma_f32 v[60:61], v[16:17], v[52:53], v[64:65] op_sel:[0,0,1] op_sel_hi:[1,0,0]
	v_pk_fma_f32 v[62:63], v[20:21], v[54:55], v[34:35] op_sel_hi:[1,0,1] neg_lo:[1,0,0] neg_hi:[1,0,0]
	v_add_nc_u64_e32 v[16:17], s[10:11], v[44:45]
	v_pk_fma_f32 v[34:35], v[28:29], v[48:49], v[30:31] op_sel:[1,0,0] op_sel_hi:[0,0,1] neg_lo:[1,0,0]
	v_add_nc_u64_e32 v[28:29], s[10:11], v[42:43]
	v_pk_fma_f32 v[32:33], v[20:21], v[48:49], v[32:33] op_sel:[1,0,0] op_sel_hi:[0,0,1] neg_lo:[1,0,0]
	v_pk_fma_f32 v[30:31], v[20:21], v[46:47], v[62:63] op_sel:[1,0,0] op_sel_hi:[0,0,1] neg_lo:[0,1,0]
	v_add_nc_u64_e32 v[62:63], s[8:9], v[42:43]
	global_store_b64 v8, v[24:25], s[12:13] scale_offset
	s_clause 0x1
	global_store_b64 v[16:17], v[32:33], off
	global_store_b64 v[28:29], v[60:61], off
	global_load_b64 v[20:21], v2, s[12:13] scale_offset
	s_clause 0x3
	global_store_b64 v[14:15], v[34:35], off
	global_store_b64 v[62:63], v[30:31], off
	global_load_b64 v[30:31], v4, s[8:9] scale_offset
	global_load_b64 v[28:29], v4, s[10:11] scale_offset
	v_xor_b32_e32 v60, 0x80000000, v41
	v_mov_b32_e32 v61, v40
	v_add_nc_u64_e32 v[44:45], s[4:5], v[44:45]
	v_add_nc_u64_e32 v[42:43], s[4:5], v[42:43]
	s_delay_alu instid0(VALU_DEP_3) | instskip(NEXT) | instid1(VALU_DEP_1)
	v_pk_mul_f32 v[60:61], v[46:47], v[60:61] op_sel_hi:[0,1]
	v_pk_fma_f32 v[40:41], v[40:41], v[54:55], v[60:61] op_sel_hi:[1,0,1]
	v_xor_b32_e32 v60, 0x80000000, v39
	v_mov_b32_e32 v61, v38
	s_delay_alu instid0(VALU_DEP_3) | instskip(SKIP_1) | instid1(VALU_DEP_1)
	v_pk_fma_f32 v[38:39], v[38:39], v[52:53], v[40:41] op_sel_hi:[1,0,1]
	v_pk_mul_f32 v[40:41], v[48:49], v[36:37] op_sel_hi:[0,1] neg_lo:[1,0]
	v_pk_fma_f32 v[40:41], v[36:37], v[52:53], v[40:41] op_sel:[0,0,1] op_sel_hi:[1,0,0]
	s_delay_alu instid0(VALU_DEP_3) | instskip(NEXT) | instid1(VALU_DEP_2)
	v_pk_fma_f32 v[36:37], v[60:61], v[48:49], v[38:39] op_sel_hi:[1,0,1]
	v_pk_fma_f32 v[40:41], v[26:27], v[54:55], v[40:41] op_sel_hi:[1,0,1] neg_lo:[1,0,0] neg_hi:[1,0,0]
	s_delay_alu instid0(VALU_DEP_2) | instskip(NEXT) | instid1(VALU_DEP_2)
	v_dual_mul_f32 v3, v36, -v37 :: v_dual_mul_f32 v5, v37, v37
	v_pk_fma_f32 v[26:27], v[26:27], v[46:47], v[40:41] op_sel:[1,0,0] op_sel_hi:[0,0,1] neg_lo:[0,1,0]
	s_delay_alu instid0(VALU_DEP_2) | instskip(SKIP_3) | instid1(VALU_DEP_2)
	v_dual_fmac_f32 v3, v37, v36 :: v_dual_fmac_f32 v5, v36, v36
	s_wait_loadcnt 0x5
	v_pk_mul_f32 v[38:39], v[46:47], v[56:57] op_sel:[0,1] op_sel_hi:[0,0] neg_lo:[0,1]
	v_pk_mul_f32 v[60:61], v[48:49], v[56:57] op_sel_hi:[0,1] neg_lo:[1,0]
	v_pk_fma_f32 v[38:39], v[56:57], v[54:55], v[38:39] op_sel_hi:[1,0,1]
	s_delay_alu instid0(VALU_DEP_2) | instskip(SKIP_1) | instid1(VALU_DEP_2)
	v_pk_fma_f32 v[56:57], v[56:57], v[52:53], v[60:61] op_sel:[0,0,1] op_sel_hi:[1,0,0]
	s_wait_loadcnt 0x4
	v_pk_fma_f32 v[38:39], v[58:59], v[52:53], v[38:39] op_sel_hi:[1,0,1]
	s_delay_alu instid0(VALU_DEP_2) | instskip(NEXT) | instid1(VALU_DEP_2)
	v_pk_fma_f32 v[52:53], v[58:59], v[54:55], v[56:57] op_sel_hi:[1,0,1] neg_lo:[1,0,0] neg_hi:[1,0,0]
	v_pk_fma_f32 v[38:39], v[58:59], v[48:49], v[38:39] op_sel:[1,0,0] op_sel_hi:[0,0,1] neg_lo:[1,0,0]
	s_delay_alu instid0(VALU_DEP_2)
	v_pk_fma_f32 v[48:49], v[58:59], v[46:47], v[52:53] op_sel:[1,0,0] op_sel_hi:[0,0,1] neg_lo:[0,1,0]
	s_clause 0x1
	global_store_b64 v[10:11], v[38:39], off
	global_store_b64 v[50:51], v[48:49], off
	s_clause 0x1
	global_store_b64 v[44:45], v[36:37], off
	global_store_b64 v[42:43], v[26:27], off
	s_wait_loadcnt 0x3
	v_dual_fmac_f32 v3, v19, v18 :: v_dual_fmac_f32 v5, v18, v18
	s_delay_alu instid0(VALU_DEP_1) | instskip(NEXT) | instid1(VALU_DEP_1)
	v_fma_f32 v9, v18, -v19, v3
                                        ; implicit-def: $vgpr3
	v_cmp_gt_f32_e32 vcc_lo, 0, v9
	s_delay_alu instid0(VALU_DEP_3) | instskip(SKIP_1) | instid1(VALU_DEP_1)
	v_dual_fmac_f32 v5, v19, v19 :: v_dual_cndmask_b32 v7, v9, -v9, vcc_lo
	s_wait_xcnt 0x0
	v_cmpx_ngt_f32_e32 v5, v7
	s_xor_b32 s24, exec_lo, s0
	s_cbranch_execz .LBB8_14
; %bb.11:                               ;   in Loop: Header=BB8_4 Depth=1
	v_mov_b32_e32 v3, 0
	s_mov_b32 s25, exec_lo
	v_cmpx_neq_f32_e32 0, v9
	s_cbranch_execz .LBB8_13
; %bb.12:                               ;   in Loop: Header=BB8_4 Depth=1
	v_div_scale_f32 v3, null, v7, v7, v5
	v_div_scale_f32 v27, vcc_lo, v5, v7, v5
	s_delay_alu instid0(VALU_DEP_2) | instskip(SKIP_1) | instid1(TRANS32_DEP_1)
	v_rcp_f32_e32 v9, v3
	v_nop
	v_fma_f32 v26, -v3, v9, 1.0
	s_delay_alu instid0(VALU_DEP_1) | instskip(NEXT) | instid1(VALU_DEP_1)
	v_fmac_f32_e32 v9, v26, v9
	v_mul_f32_e32 v26, v27, v9
	s_delay_alu instid0(VALU_DEP_1) | instskip(NEXT) | instid1(VALU_DEP_1)
	v_fma_f32 v38, -v3, v26, v27
	v_fmac_f32_e32 v26, v38, v9
	s_delay_alu instid0(VALU_DEP_1) | instskip(NEXT) | instid1(VALU_DEP_1)
	v_fma_f32 v3, -v3, v26, v27
	v_div_fmas_f32 v3, v3, v9, v26
	s_delay_alu instid0(VALU_DEP_1) | instskip(NEXT) | instid1(VALU_DEP_1)
	v_div_fixup_f32 v3, v3, v7, v5
	v_fma_f32 v3, v3, v3, 1.0
	s_delay_alu instid0(VALU_DEP_1) | instskip(SKIP_1) | instid1(VALU_DEP_2)
	v_mul_f32_e32 v5, 0x4f800000, v3
	v_cmp_gt_f32_e32 vcc_lo, 0xf800000, v3
	v_cndmask_b32_e32 v3, v3, v5, vcc_lo
	s_delay_alu instid0(VALU_DEP_1) | instskip(SKIP_1) | instid1(TRANS32_DEP_1)
	v_sqrt_f32_e32 v5, v3
	v_nop
	v_dual_add_nc_u32 v9, -1, v5 :: v_dual_add_nc_u32 v26, 1, v5
	s_delay_alu instid0(VALU_DEP_1) | instskip(NEXT) | instid1(VALU_DEP_1)
	v_dual_fma_f32 v27, -v9, v5, v3 :: v_dual_fma_f32 v38, -v26, v5, v3
	v_cmp_ge_f32_e64 s0, 0, v27
	s_delay_alu instid0(VALU_DEP_1) | instskip(NEXT) | instid1(VALU_DEP_3)
	v_cndmask_b32_e64 v5, v5, v9, s0
	v_cmp_lt_f32_e64 s0, 0, v38
	s_delay_alu instid0(VALU_DEP_1) | instskip(NEXT) | instid1(VALU_DEP_1)
	v_cndmask_b32_e64 v5, v5, v26, s0
	v_mul_f32_e32 v9, 0x37800000, v5
	s_delay_alu instid0(VALU_DEP_1) | instskip(SKIP_1) | instid1(VALU_DEP_2)
	v_cndmask_b32_e32 v5, v5, v9, vcc_lo
	v_cmp_class_f32_e64 vcc_lo, v3, 0x260
	v_cndmask_b32_e32 v3, v5, v3, vcc_lo
	s_delay_alu instid0(VALU_DEP_1)
	v_mul_f32_e32 v3, v7, v3
.LBB8_13:                               ;   in Loop: Header=BB8_4 Depth=1
	s_or_b32 exec_lo, exec_lo, s25
                                        ; implicit-def: $vgpr5
                                        ; implicit-def: $vgpr7
.LBB8_14:                               ;   in Loop: Header=BB8_4 Depth=1
	s_and_not1_saveexec_b32 s24, s24
	s_cbranch_execz .LBB8_3
; %bb.15:                               ;   in Loop: Header=BB8_4 Depth=1
	v_div_scale_f32 v3, null, v5, v5, v7
	v_div_scale_f32 v27, vcc_lo, v7, v5, v7
	s_delay_alu instid0(VALU_DEP_2) | instskip(SKIP_1) | instid1(TRANS32_DEP_1)
	v_rcp_f32_e32 v9, v3
	v_nop
	v_fma_f32 v26, -v3, v9, 1.0
	s_delay_alu instid0(VALU_DEP_1) | instskip(NEXT) | instid1(VALU_DEP_1)
	v_fmac_f32_e32 v9, v26, v9
	v_mul_f32_e32 v26, v27, v9
	s_delay_alu instid0(VALU_DEP_1) | instskip(NEXT) | instid1(VALU_DEP_1)
	v_fma_f32 v38, -v3, v26, v27
	v_fmac_f32_e32 v26, v38, v9
	s_delay_alu instid0(VALU_DEP_1) | instskip(NEXT) | instid1(VALU_DEP_1)
	v_fma_f32 v3, -v3, v26, v27
	v_div_fmas_f32 v3, v3, v9, v26
	s_delay_alu instid0(VALU_DEP_1) | instskip(NEXT) | instid1(VALU_DEP_1)
	v_div_fixup_f32 v3, v3, v5, v7
	v_fma_f32 v3, v3, v3, 1.0
	s_delay_alu instid0(VALU_DEP_1) | instskip(SKIP_1) | instid1(VALU_DEP_2)
	v_mul_f32_e32 v7, 0x4f800000, v3
	v_cmp_gt_f32_e32 vcc_lo, 0xf800000, v3
	v_cndmask_b32_e32 v3, v3, v7, vcc_lo
	s_delay_alu instid0(VALU_DEP_1) | instskip(SKIP_1) | instid1(TRANS32_DEP_1)
	v_sqrt_f32_e32 v7, v3
	v_nop
	v_dual_add_nc_u32 v9, -1, v7 :: v_dual_add_nc_u32 v26, 1, v7
	s_delay_alu instid0(VALU_DEP_1) | instskip(NEXT) | instid1(VALU_DEP_1)
	v_fma_f32 v27, -v9, v7, v3
	v_cmp_ge_f32_e64 s0, 0, v27
	s_delay_alu instid0(VALU_DEP_1) | instskip(NEXT) | instid1(VALU_DEP_1)
	v_dual_fma_f32 v38, -v26, v7, v3 :: v_dual_cndmask_b32 v7, v7, v9, s0
	v_cmp_lt_f32_e64 s0, 0, v38
	s_delay_alu instid0(VALU_DEP_1) | instskip(NEXT) | instid1(VALU_DEP_1)
	v_cndmask_b32_e64 v7, v7, v26, s0
	v_mul_f32_e32 v9, 0x37800000, v7
	s_delay_alu instid0(VALU_DEP_1) | instskip(SKIP_1) | instid1(VALU_DEP_2)
	v_cndmask_b32_e32 v7, v7, v9, vcc_lo
	v_cmp_class_f32_e64 vcc_lo, v3, 0x260
	v_cndmask_b32_e32 v3, v7, v3, vcc_lo
	s_delay_alu instid0(VALU_DEP_1)
	v_mul_f32_e32 v3, v5, v3
	s_branch .LBB8_3
.LBB8_16:
	s_wait_xcnt 0x0
	s_add_co_i32 s0, s16, -1
	v_mad_u32 v2, s17, s22, v1
	s_mul_i32 s1, s18, s0
                                        ; implicit-def: $vgpr44
	s_mov_b32 s0, exec_lo
	v_add_nc_u32_e32 v32, s1, v1
	s_wait_kmcnt 0x0
	global_load_b64 v[30:31], v32, s[4:5] scale_offset
	s_wait_xcnt 0x0
	s_sub_co_i32 s4, s1, s18
	s_delay_alu instid0(SALU_CYCLE_1) | instskip(NEXT) | instid1(VALU_DEP_1)
	v_dual_add_nc_u32 v38, s4, v1 :: v_dual_add_nc_u32 v8, s17, v2
	v_dual_ashrrev_i32 v33, 31, v32 :: v_dual_ashrrev_i32 v39, 31, v38
	global_load_b64 v[28:29], v38, s[6:7] scale_offset
	v_lshlrev_b64_e32 v[16:17], 3, v[32:33]
	v_lshlrev_b64_e32 v[18:19], 3, v[38:39]
	s_wait_loadcnt 0x1
	v_mul_f32_e64 v3, v30, -v31
	s_clause 0x2
	global_load_b64 v[22:23], v32, s[6:7] scale_offset
	global_load_b64 v[14:15], v32, s[8:9] scale_offset
	;; [unrolled: 1-line block ×3, first 2 shown]
	s_clause 0x1
	global_load_b64 v[20:21], v38, s[8:9] scale_offset
	global_load_b64 v[12:13], v38, s[10:11] scale_offset
	s_clause 0x1
	global_load_b64 v[6:7], v2, s[12:13] scale_offset
	global_load_b64 v[4:5], v8, s[12:13] scale_offset
	v_dual_mul_f32 v45, v31, v31 :: v_dual_ashrrev_i32 v9, 31, v8
	s_delay_alu instid0(VALU_DEP_1) | instskip(SKIP_1) | instid1(VALU_DEP_1)
	v_dual_fmac_f32 v3, v31, v30 :: v_dual_fmac_f32 v45, v30, v30
	s_wait_loadcnt 0x7
	v_dual_fmac_f32 v3, v29, v28 :: v_dual_fmac_f32 v45, v28, v28
	s_delay_alu instid0(VALU_DEP_1) | instskip(NEXT) | instid1(VALU_DEP_1)
	v_dual_fma_f32 v24, v28, -v29, v3 :: v_dual_ashrrev_i32 v3, 31, v2
	v_cmp_gt_f32_e32 vcc_lo, 0, v24
	s_delay_alu instid0(VALU_DEP_3) | instskip(SKIP_1) | instid1(VALU_DEP_1)
	v_dual_fmac_f32 v45, v29, v29 :: v_dual_cndmask_b32 v46, v24, -v24, vcc_lo
	s_wait_xcnt 0x0
	v_cmpx_ngt_f32_e32 v45, v46
	s_xor_b32 s5, exec_lo, s0
	s_cbranch_execz .LBB8_20
; %bb.17:
	v_mov_b32_e32 v44, 0
	s_mov_b32 s20, exec_lo
	v_cmpx_neq_f32_e32 0, v24
	s_cbranch_execz .LBB8_19
; %bb.18:
	v_div_scale_f32 v24, null, v46, v46, v45
	v_div_scale_f32 v27, vcc_lo, v45, v46, v45
	s_delay_alu instid0(VALU_DEP_2) | instskip(SKIP_1) | instid1(TRANS32_DEP_1)
	v_rcp_f32_e32 v25, v24
	v_nop
	v_fma_f32 v26, -v24, v25, 1.0
	s_delay_alu instid0(VALU_DEP_1) | instskip(NEXT) | instid1(VALU_DEP_1)
	v_fmac_f32_e32 v25, v26, v25
	v_mul_f32_e32 v26, v27, v25
	s_delay_alu instid0(VALU_DEP_1) | instskip(NEXT) | instid1(VALU_DEP_1)
	v_fma_f32 v34, -v24, v26, v27
	v_fmac_f32_e32 v26, v34, v25
	s_delay_alu instid0(VALU_DEP_1) | instskip(NEXT) | instid1(VALU_DEP_1)
	v_fma_f32 v24, -v24, v26, v27
	v_div_fmas_f32 v24, v24, v25, v26
	s_delay_alu instid0(VALU_DEP_1) | instskip(NEXT) | instid1(VALU_DEP_1)
	v_div_fixup_f32 v24, v24, v46, v45
	v_fma_f32 v24, v24, v24, 1.0
	s_delay_alu instid0(VALU_DEP_1) | instskip(SKIP_1) | instid1(VALU_DEP_2)
	v_mul_f32_e32 v25, 0x4f800000, v24
	v_cmp_gt_f32_e32 vcc_lo, 0xf800000, v24
	v_cndmask_b32_e32 v24, v24, v25, vcc_lo
	s_delay_alu instid0(VALU_DEP_1) | instskip(SKIP_1) | instid1(TRANS32_DEP_1)
	v_sqrt_f32_e32 v25, v24
	v_nop
	v_dual_add_nc_u32 v26, -1, v25 :: v_dual_add_nc_u32 v27, 1, v25
	s_delay_alu instid0(VALU_DEP_1) | instskip(NEXT) | instid1(VALU_DEP_1)
	v_fma_f32 v34, -v26, v25, v24
	v_cmp_ge_f32_e64 s0, 0, v34
	s_delay_alu instid0(VALU_DEP_1) | instskip(NEXT) | instid1(VALU_DEP_1)
	v_dual_fma_f32 v35, -v27, v25, v24 :: v_dual_cndmask_b32 v25, v25, v26, s0
	v_cmp_lt_f32_e64 s0, 0, v35
	s_delay_alu instid0(VALU_DEP_1) | instskip(NEXT) | instid1(VALU_DEP_1)
	v_cndmask_b32_e64 v25, v25, v27, s0
	v_mul_f32_e32 v26, 0x37800000, v25
	s_delay_alu instid0(VALU_DEP_1) | instskip(SKIP_1) | instid1(VALU_DEP_2)
	v_cndmask_b32_e32 v25, v25, v26, vcc_lo
	v_cmp_class_f32_e64 vcc_lo, v24, 0x260
	v_cndmask_b32_e32 v24, v25, v24, vcc_lo
	s_delay_alu instid0(VALU_DEP_1)
	v_mul_f32_e32 v44, v46, v24
.LBB8_19:
	s_or_b32 exec_lo, exec_lo, s20
                                        ; implicit-def: $vgpr45
                                        ; implicit-def: $vgpr46
.LBB8_20:
	s_or_saveexec_b32 s5, s5
	v_add_nc_u64_e32 v[40:41], s[6:7], v[18:19]
	v_add_nc_u64_e32 v[42:43], s[6:7], v[16:17]
	;; [unrolled: 1-line block ×6, first 2 shown]
	v_lshl_add_u64 v[16:17], v[2:3], 3, s[12:13]
	v_lshl_add_u64 v[18:19], v[8:9], 3, s[12:13]
	s_xor_b32 exec_lo, exec_lo, s5
	s_cbranch_execz .LBB8_22
; %bb.21:
	v_div_scale_f32 v9, null, v45, v45, v46
	v_div_scale_f32 v48, vcc_lo, v46, v45, v46
	s_delay_alu instid0(VALU_DEP_2) | instskip(SKIP_1) | instid1(TRANS32_DEP_1)
	v_rcp_f32_e32 v44, v9
	v_nop
	v_fma_f32 v47, -v9, v44, 1.0
	s_delay_alu instid0(VALU_DEP_1) | instskip(NEXT) | instid1(VALU_DEP_1)
	v_fmac_f32_e32 v44, v47, v44
	v_mul_f32_e32 v47, v48, v44
	s_delay_alu instid0(VALU_DEP_1) | instskip(NEXT) | instid1(VALU_DEP_1)
	v_fma_f32 v49, -v9, v47, v48
	v_fmac_f32_e32 v47, v49, v44
	s_delay_alu instid0(VALU_DEP_1) | instskip(NEXT) | instid1(VALU_DEP_1)
	v_fma_f32 v9, -v9, v47, v48
	v_div_fmas_f32 v9, v9, v44, v47
	s_delay_alu instid0(VALU_DEP_1) | instskip(NEXT) | instid1(VALU_DEP_1)
	v_div_fixup_f32 v9, v9, v45, v46
	v_fma_f32 v9, v9, v9, 1.0
	s_delay_alu instid0(VALU_DEP_1) | instskip(SKIP_1) | instid1(VALU_DEP_2)
	v_mul_f32_e32 v44, 0x4f800000, v9
	v_cmp_gt_f32_e32 vcc_lo, 0xf800000, v9
	v_cndmask_b32_e32 v9, v9, v44, vcc_lo
	s_delay_alu instid0(VALU_DEP_1) | instskip(SKIP_1) | instid1(TRANS32_DEP_1)
	v_sqrt_f32_e32 v44, v9
	v_nop
	v_dual_add_nc_u32 v46, -1, v44 :: v_dual_add_nc_u32 v47, 1, v44
	s_delay_alu instid0(VALU_DEP_1) | instskip(NEXT) | instid1(VALU_DEP_1)
	v_dual_fma_f32 v48, -v46, v44, v9 :: v_dual_fma_f32 v49, -v47, v44, v9
	v_cmp_ge_f32_e64 s0, 0, v48
	s_delay_alu instid0(VALU_DEP_1) | instskip(NEXT) | instid1(VALU_DEP_3)
	v_cndmask_b32_e64 v44, v44, v46, s0
	v_cmp_lt_f32_e64 s0, 0, v49
	s_delay_alu instid0(VALU_DEP_1) | instskip(NEXT) | instid1(VALU_DEP_1)
	v_cndmask_b32_e64 v44, v44, v47, s0
	v_mul_f32_e32 v46, 0x37800000, v44
	s_delay_alu instid0(VALU_DEP_1) | instskip(SKIP_1) | instid1(VALU_DEP_2)
	v_cndmask_b32_e32 v44, v44, v46, vcc_lo
	v_cmp_class_f32_e64 vcc_lo, v9, 0x260
	v_cndmask_b32_e32 v9, v44, v9, vcc_lo
	s_delay_alu instid0(VALU_DEP_1)
	v_mul_f32_e32 v44, v45, v9
.LBB8_22:
	s_or_b32 exec_lo, exec_lo, s5
	v_lshl_add_u64 v[32:33], v[32:33], 3, s[2:3]
	v_lshl_add_u64 v[38:39], v[38:39], 3, s[2:3]
	s_delay_alu instid0(VALU_DEP_3)
	v_mul_f32_e32 v9, 0x4f800000, v44
	v_cmp_gt_f32_e32 vcc_lo, 0xf800000, v44
	v_dual_mul_f32 v54, 0x80000000, v31 :: v_dual_mov_b32 v59, v30
	s_clause 0x1
	global_load_b64 v[46:47], v[32:33], off
	global_load_b64 v[48:49], v[38:39], off
	v_cndmask_b32_e32 v9, v44, v9, vcc_lo
	v_xor_b32_e32 v58, 0x80000000, v31
	v_lshl_add_u64 v[2:3], v[2:3], 3, s[14:15]
	s_delay_alu instid0(VALU_DEP_3) | instskip(SKIP_1) | instid1(TRANS32_DEP_1)
	v_sqrt_f32_e32 v44, v9
	v_nop
	v_dual_add_nc_u32 v45, -1, v44 :: v_dual_add_nc_u32 v50, 1, v44
	s_delay_alu instid0(VALU_DEP_1) | instskip(NEXT) | instid1(VALU_DEP_1)
	v_dual_fma_f32 v51, -v45, v44, v9 :: v_dual_fma_f32 v52, -v50, v44, v9
	v_cmp_ge_f32_e64 s0, 0, v51
	s_delay_alu instid0(VALU_DEP_1) | instskip(NEXT) | instid1(VALU_DEP_3)
	v_cndmask_b32_e64 v44, v44, v45, s0
	v_cmp_lt_f32_e64 s0, 0, v52
	s_delay_alu instid0(VALU_DEP_1) | instskip(SKIP_1) | instid1(VALU_DEP_1)
	v_cndmask_b32_e64 v44, v44, v50, s0
	s_sub_co_i32 s0, s4, s18
	v_mul_f32_e32 v45, 0x37800000, v44
	s_delay_alu instid0(VALU_DEP_1) | instskip(SKIP_1) | instid1(VALU_DEP_2)
	v_cndmask_b32_e32 v44, v44, v45, vcc_lo
	v_cmp_class_f32_e64 vcc_lo, v9, 0x260
	v_cndmask_b32_e32 v9, v44, v9, vcc_lo
	s_delay_alu instid0(VALU_DEP_1) | instskip(NEXT) | instid1(VALU_DEP_1)
	v_fma_f32 v44, v9, v9, 0
	v_div_scale_f32 v45, null, v44, v44, 1.0
	v_div_scale_f32 v52, vcc_lo, 1.0, v44, 1.0
	s_delay_alu instid0(VALU_DEP_2) | instskip(SKIP_1) | instid1(TRANS32_DEP_1)
	v_rcp_f32_e32 v50, v45
	v_nop
	v_fma_f32 v51, -v45, v50, 1.0
	s_delay_alu instid0(VALU_DEP_1) | instskip(NEXT) | instid1(VALU_DEP_1)
	v_fmac_f32_e32 v50, v51, v50
	v_mul_f32_e32 v51, v52, v50
	s_delay_alu instid0(VALU_DEP_1) | instskip(NEXT) | instid1(VALU_DEP_1)
	v_fma_f32 v53, -v45, v51, v52
	v_fmac_f32_e32 v51, v53, v50
	s_delay_alu instid0(VALU_DEP_1) | instskip(SKIP_2) | instid1(VALU_DEP_3)
	v_fma_f32 v45, -v45, v51, v52
	v_mul_f32_e32 v52, 0x80000000, v28
	v_fmac_f32_e32 v54, v30, v9
	v_div_fmas_f32 v45, v45, v50, v51
	v_mul_f32_e32 v50, 0x80000000, v29
	s_delay_alu instid0(VALU_DEP_4) | instskip(NEXT) | instid1(VALU_DEP_3)
	v_fma_f32 v51, -v29, v9, v52
	v_div_fixup_f32 v45, v45, v44, 1.0
	s_delay_alu instid0(VALU_DEP_1) | instskip(NEXT) | instid1(VALU_DEP_1)
	v_dual_mul_f32 v44, v51, v45 :: v_dual_mul_f32 v51, 0x80000000, v30
	v_dual_fmac_f32 v50, v28, v9 :: v_dual_fma_f32 v9, -v31, v9, v51
	s_delay_alu instid0(VALU_DEP_1) | instskip(SKIP_1) | instid1(VALU_DEP_3)
	v_mul_f32_e32 v50, v50, v45
	s_wait_loadcnt 0x8
	v_pk_mul_f32 v[52:53], v[44:45], v[22:23] op_sel_hi:[0,1] neg_lo:[1,0]
	s_delay_alu instid0(VALU_DEP_3) | instskip(NEXT) | instid1(VALU_DEP_2)
	v_dual_mul_f32 v54, v54, v45 :: v_dual_mul_f32 v56, v9, v45
	v_pk_fma_f32 v[52:53], v[22:23], v[50:51], v[52:53] op_sel:[0,0,1] op_sel_hi:[1,0,0]
	s_delay_alu instid0(VALU_DEP_2) | instskip(SKIP_1) | instid1(VALU_DEP_2)
	v_pk_mul_f32 v[58:59], v[56:57], v[58:59] op_sel_hi:[0,1]
	s_wait_loadcnt 0x5
	v_pk_fma_f32 v[52:53], v[20:21], v[54:55], v[52:53] op_sel_hi:[1,0,1] neg_lo:[1,0,0] neg_hi:[1,0,0]
	s_delay_alu instid0(VALU_DEP_2) | instskip(SKIP_1) | instid1(VALU_DEP_3)
	v_pk_fma_f32 v[30:31], v[30:31], v[54:55], v[58:59] op_sel_hi:[1,0,1]
	v_xor_b32_e32 v58, 0x80000000, v29
	v_pk_fma_f32 v[52:53], v[20:21], v[56:57], v[52:53] op_sel:[1,0,0] op_sel_hi:[0,0,1] neg_lo:[0,1,0]
	v_mov_b32_e32 v59, v28
	s_delay_alu instid0(VALU_DEP_4) | instskip(NEXT) | instid1(VALU_DEP_3)
	v_pk_fma_f32 v[28:29], v[28:29], v[50:51], v[30:31] op_sel_hi:[1,0,1]
	v_mul_f32_e32 v9, v53, v53
	s_delay_alu instid0(VALU_DEP_1) | instskip(NEXT) | instid1(VALU_DEP_1)
	v_fmac_f32_e32 v9, v52, v52
	v_div_scale_f32 v45, null, v9, v9, 1.0
	s_delay_alu instid0(VALU_DEP_1)
	v_rcp_f32_e32 v51, v45
	v_pk_fma_f32 v[28:29], v[58:59], v[44:45], v[28:29] op_sel_hi:[1,0,1]
	global_store_b64 v[40:41], v[28:29], off
	v_fma_f32 v30, -v45, v51, 1.0
	s_wait_xcnt 0x0
	v_mov_b32_e32 v29, v22
	v_div_scale_f32 v55, vcc_lo, 1.0, v9, 1.0
	global_store_b64 v[42:43], v[52:53], off
	v_fmac_f32_e32 v51, v30, v51
	v_xor_b32_e32 v28, 0x80000000, v23
	global_load_b64 v[30:31], v[40:41], off
	v_mul_f32_e32 v57, v55, v51
	s_delay_alu instid0(VALU_DEP_1) | instskip(SKIP_2) | instid1(VALU_DEP_2)
	v_pk_mul_f32 v[28:29], v[56:57], v[28:29] op_sel_hi:[0,1]
	s_wait_xcnt 0x0
	v_fma_f32 v40, -v45, v57, v55
	v_pk_fma_f32 v[22:23], v[22:23], v[54:55], v[28:29] op_sel_hi:[1,0,1]
	s_delay_alu instid0(VALU_DEP_2) | instskip(SKIP_1) | instid1(VALU_DEP_3)
	v_fmac_f32_e32 v57, v40, v51
	v_pk_mul_f32 v[40:41], v[44:45], v[14:15] op_sel_hi:[0,1] neg_lo:[1,0]
	v_pk_fma_f32 v[22:23], v[20:21], v[50:51], v[22:23] op_sel_hi:[1,0,1]
	s_delay_alu instid0(VALU_DEP_3) | instskip(NEXT) | instid1(VALU_DEP_3)
	v_fma_f32 v42, -v45, v57, v55
	v_pk_fma_f32 v[40:41], v[14:15], v[50:51], v[40:41] op_sel:[0,0,1] op_sel_hi:[1,0,0]
	s_delay_alu instid0(VALU_DEP_3) | instskip(SKIP_1) | instid1(VALU_DEP_2)
	v_pk_fma_f32 v[20:21], v[20:21], v[44:45], v[22:23] op_sel:[1,0,0] op_sel_hi:[0,0,1] neg_lo:[1,0,0]
	s_wait_loadcnt 0x5
	v_pk_fma_f32 v[40:41], v[12:13], v[54:55], v[40:41] op_sel_hi:[1,0,1] neg_lo:[1,0,0] neg_hi:[1,0,0]
	s_wait_loadcnt 0x2
	v_pk_mul_f32 v[28:29], v[44:45], v[46:47] op_sel_hi:[0,1] neg_lo:[1,0]
	v_div_fmas_f32 v45, v42, v51, v57
	s_delay_alu instid0(VALU_DEP_2) | instskip(SKIP_1) | instid1(VALU_DEP_1)
	v_pk_fma_f32 v[28:29], v[46:47], v[50:51], v[28:29] op_sel:[0,0,1] op_sel_hi:[1,0,0]
	s_wait_loadcnt 0x1
	v_pk_fma_f32 v[28:29], v[48:49], v[54:55], v[28:29] op_sel_hi:[1,0,1] neg_lo:[1,0,0] neg_hi:[1,0,0]
	s_delay_alu instid0(VALU_DEP_1) | instskip(NEXT) | instid1(VALU_DEP_1)
	v_pk_fma_f32 v[22:23], v[48:49], v[56:57], v[28:29] op_sel:[1,0,0] op_sel_hi:[0,0,1] neg_lo:[0,1,0]
	v_mov_b32_e32 v42, v23
	v_pk_mul_f32 v[28:29], v[56:57], v[46:47] op_sel:[0,1] op_sel_hi:[0,0] neg_lo:[0,1]
	s_delay_alu instid0(VALU_DEP_3)
	v_xor_b32_e32 v43, 0x80000000, v22
	v_pk_fma_f32 v[40:41], v[12:13], v[56:57], v[40:41] op_sel:[1,0,0] op_sel_hi:[0,0,1] neg_lo:[0,1,0]
	s_clause 0x1
	global_store_b64 v[34:35], v[20:21], off
	global_store_b64 v[36:37], v[40:41], off
	v_pk_fma_f32 v[28:29], v[46:47], v[54:55], v[28:29] op_sel_hi:[1,0,1]
	v_pk_mul_f32 v[42:43], v[52:53], v[42:43] op_sel:[1,0]
	s_wait_xcnt 0x1
	v_div_fixup_f32 v20, v45, v9, 1.0
	global_load_b64 v[34:35], v[34:35], off
	s_wait_xcnt 0x1
	v_xor_b32_e32 v36, 0x80000000, v15
	v_pk_fma_f32 v[28:29], v[48:49], v[50:51], v[28:29] op_sel_hi:[1,0,1]
	v_pk_fma_f32 v[22:23], v[22:23], v[52:53], v[42:43] op_sel_hi:[1,0,1]
	v_mov_b32_e32 v37, v14
	s_delay_alu instid0(VALU_DEP_3) | instskip(NEXT) | instid1(VALU_DEP_3)
	v_pk_fma_f32 v[28:29], v[48:49], v[44:45], v[28:29] op_sel:[1,0,0] op_sel_hi:[0,0,1] neg_lo:[1,0,0]
	v_pk_mul_f32 v[20:21], v[20:21], v[22:23] op_sel_hi:[0,1]
	s_clause 0x2
	global_store_b64 v[38:39], v[28:29], off
	global_store_b64 v[32:33], v[20:21], off
	global_load_b64 v[22:23], v[38:39], off
	v_add_nc_u32_e32 v45, s0, v1
	s_sub_co_i32 s0, s0, s18
	s_cmp_lt_i32 s16, 5
	v_pk_mul_f32 v[36:37], v[56:57], v[36:37] op_sel_hi:[0,1]
	v_add_nc_u32_e32 v1, s0, v1
	s_delay_alu instid0(VALU_DEP_2) | instskip(NEXT) | instid1(VALU_DEP_1)
	v_pk_fma_f32 v[14:15], v[14:15], v[54:55], v[36:37] op_sel_hi:[1,0,1]
	v_pk_fma_f32 v[14:15], v[12:13], v[50:51], v[14:15] op_sel_hi:[1,0,1]
	s_delay_alu instid0(VALU_DEP_1) | instskip(SKIP_2) | instid1(VALU_DEP_1)
	v_pk_fma_f32 v[12:13], v[12:13], v[44:45], v[14:15] op_sel:[1,0,0] op_sel_hi:[0,0,1] neg_lo:[1,0,0]
	s_wait_loadcnt 0x2
	v_mul_f32_e32 v9, v31, v31
	v_fmac_f32_e32 v9, v30, v30
	s_delay_alu instid0(VALU_DEP_1) | instskip(SKIP_1) | instid1(VALU_DEP_2)
	v_div_scale_f32 v42, null, v9, v9, 1.0
	v_div_scale_f32 v46, vcc_lo, 1.0, v9, 1.0
	v_rcp_f32_e32 v43, v42
	s_wait_xcnt 0x2
	v_nop
	s_delay_alu instid0(TRANS32_DEP_1) | instskip(NEXT) | instid1(VALU_DEP_1)
	v_fma_f32 v28, -v42, v43, 1.0
	v_fmac_f32_e32 v43, v28, v43
	global_load_b64 v[28:29], v45, s[6:7] scale_offset
	s_wait_loadcnt 0x2
	v_pk_mul_f32 v[40:41], v[20:21], v[34:35] op_sel:[1,1] op_sel_hi:[1,0] neg_lo:[0,1]
	s_wait_xcnt 0x2
	s_delay_alu instid0(VALU_DEP_1) | instskip(SKIP_2) | instid1(VALU_DEP_2)
	v_pk_fma_f32 v[20:21], v[34:35], v[20:21], v[40:41] op_sel_hi:[1,0,1]
	v_pk_mul_f32 v[34:35], v[44:45], v[10:11] op_sel_hi:[0,1] neg_lo:[1,0]
	s_wait_loadcnt 0x1
	v_pk_add_f32 v[20:21], v[22:23], v[20:21] neg_lo:[0,1] neg_hi:[0,1]
	s_delay_alu instid0(VALU_DEP_2) | instskip(NEXT) | instid1(VALU_DEP_2)
	v_pk_fma_f32 v[22:23], v[10:11], v[50:51], v[34:35] op_sel:[0,0,1] op_sel_hi:[1,0,0]
	v_pk_mul_f32 v[34:35], v[30:31], v[20:21] op_sel:[1,1] op_sel_hi:[1,0] neg_hi:[0,1]
	s_delay_alu instid0(VALU_DEP_2) | instskip(NEXT) | instid1(VALU_DEP_2)
	v_pk_fma_f32 v[22:23], v[6:7], v[54:55], v[22:23] op_sel_hi:[1,0,1] neg_lo:[1,0,0] neg_hi:[1,0,0]
	v_pk_fma_f32 v[20:21], v[20:21], v[30:31], v[34:35] op_sel_hi:[1,0,1]
	s_delay_alu instid0(VALU_DEP_2) | instskip(SKIP_2) | instid1(VALU_DEP_1)
	v_pk_fma_f32 v[14:15], v[6:7], v[56:57], v[22:23] op_sel:[1,0,0] op_sel_hi:[0,0,1] neg_lo:[0,1,0]
	global_load_b64 v[22:23], v45, s[8:9] scale_offset
	v_mul_f32_e32 v47, v46, v43
	v_fma_f32 v48, -v42, v47, v46
	s_delay_alu instid0(VALU_DEP_1) | instskip(NEXT) | instid1(VALU_DEP_1)
	v_fmac_f32_e32 v47, v48, v43
	v_fma_f32 v36, -v42, v47, v46
	s_delay_alu instid0(VALU_DEP_1) | instskip(NEXT) | instid1(VALU_DEP_1)
	v_div_fmas_f32 v36, v36, v43, v47
	v_div_fixup_f32 v36, v36, v9, 1.0
	s_delay_alu instid0(VALU_DEP_1)
	v_pk_mul_f32 v[20:21], v[36:37], v[20:21] op_sel_hi:[0,1]
	s_clause 0x1
	global_store_b64 v[24:25], v[12:13], off
	global_store_b64 v[26:27], v[14:15], off
	global_store_b64 v[38:39], v[20:21], off
	global_load_b64 v[12:13], v45, s[10:11] scale_offset
	s_clause 0x1
	global_load_b64 v[14:15], v[32:33], off
	global_load_b64 v[24:25], v45, s[2:3] scale_offset
	global_load_b64 v[30:31], v1, s[6:7] scale_offset
	s_wait_loadcnt 0x5
	v_mul_f32_e32 v9, v29, v29
	s_delay_alu instid0(VALU_DEP_1) | instskip(NEXT) | instid1(VALU_DEP_1)
	v_fmac_f32_e32 v9, v28, v28
	v_div_scale_f32 v34, null, v9, v9, 1.0
	s_delay_alu instid0(VALU_DEP_1) | instskip(SKIP_1) | instid1(TRANS32_DEP_1)
	v_rcp_f32_e32 v35, v34
	v_nop
	v_fma_f32 v26, -v34, v35, 1.0
	s_delay_alu instid0(VALU_DEP_1) | instskip(SKIP_1) | instid1(VALU_DEP_1)
	v_fmac_f32_e32 v35, v26, v35
	v_div_scale_f32 v36, vcc_lo, 1.0, v9, 1.0
	v_mul_f32_e32 v37, v36, v35
	s_wait_loadcnt 0x4
	v_pk_mul_f32 v[26:27], v[20:21], v[22:23] op_sel:[1,1] op_sel_hi:[1,0] neg_lo:[0,1]
	s_wait_xcnt 0x4
	s_delay_alu instid0(VALU_DEP_1)
	v_pk_fma_f32 v[20:21], v[22:23], v[20:21], v[26:27] op_sel_hi:[1,0,1]
	v_mov_b32_e32 v27, v10
	v_fma_f32 v40, -v34, v37, v36
	v_xor_b32_e32 v26, 0x80000000, v11
	s_wait_loadcnt 0x2
	v_pk_mul_f32 v[22:23], v[14:15], v[12:13] op_sel:[1,1] op_sel_hi:[1,0] neg_lo:[0,1]
	s_wait_loadcnt 0x1
	v_pk_add_f32 v[20:21], v[24:25], v[20:21] neg_lo:[0,1] neg_hi:[0,1]
	s_delay_alu instid0(VALU_DEP_2) | instskip(SKIP_1) | instid1(VALU_DEP_2)
	v_pk_fma_f32 v[12:13], v[12:13], v[14:15], v[22:23] op_sel_hi:[1,0,1]
	v_pk_mul_f32 v[14:15], v[56:57], v[26:27] op_sel_hi:[0,1]
	v_pk_add_f32 v[12:13], v[20:21], v[12:13] neg_lo:[0,1] neg_hi:[0,1]
	s_delay_alu instid0(VALU_DEP_2) | instskip(NEXT) | instid1(VALU_DEP_2)
	v_pk_fma_f32 v[10:11], v[10:11], v[54:55], v[14:15] op_sel_hi:[1,0,1]
	v_pk_mul_f32 v[20:21], v[28:29], v[12:13] op_sel:[1,1] op_sel_hi:[1,0] neg_hi:[0,1]
	s_delay_alu instid0(VALU_DEP_2) | instskip(NEXT) | instid1(VALU_DEP_2)
	v_pk_fma_f32 v[10:11], v[6:7], v[50:51], v[10:11] op_sel_hi:[1,0,1]
	v_pk_fma_f32 v[12:13], v[12:13], v[28:29], v[20:21] op_sel_hi:[1,0,1]
	global_load_b64 v[20:21], v1, s[8:9] scale_offset
	v_fmac_f32_e32 v37, v40, v35
	v_pk_fma_f32 v[6:7], v[6:7], v[44:45], v[10:11] op_sel:[1,0,0] op_sel_hi:[0,0,1] neg_lo:[1,0,0]
	s_delay_alu instid0(VALU_DEP_2) | instskip(NEXT) | instid1(VALU_DEP_1)
	v_fma_f32 v22, -v34, v37, v36
	v_div_fmas_f32 v22, v22, v35, v37
	s_delay_alu instid0(VALU_DEP_1) | instskip(SKIP_2) | instid1(VALU_DEP_3)
	v_div_fixup_f32 v14, v22, v9, 1.0
	v_mad_u32 v22, s17, -3, v8
	v_pk_mul_f32 v[8:9], v[44:45], v[4:5] op_sel_hi:[0,1] neg_lo:[1,0]
	v_pk_mul_f32 v[12:13], v[14:15], v[12:13] op_sel_hi:[0,1]
	global_load_b64 v[14:15], v1, s[10:11] scale_offset
	v_pk_fma_f32 v[8:9], v[4:5], v[50:51], v[8:9] op_sel:[0,0,1] op_sel_hi:[1,0,0]
	s_clause 0x1
	global_store_b64 v45, v[12:13], s[2:3] scale_offset
	global_load_b64 v[10:11], v[38:39], off
	s_clause 0x1
	global_store_b64 v[16:17], v[6:7], off
	global_store_b64 v[18:19], v[8:9], off
	global_load_b64 v[6:7], v1, s[2:3] scale_offset
	global_load_b64 v[8:9], v22, s[12:13] scale_offset
	global_load_b64 v[16:17], v[32:33], off
	s_wait_loadcnt 0x6
	s_wait_xcnt 0x1
	v_mul_f32_e32 v22, v31, v31
	s_delay_alu instid0(VALU_DEP_1) | instskip(NEXT) | instid1(VALU_DEP_1)
	v_fmac_f32_e32 v22, v30, v30
	v_div_scale_f32 v23, null, v22, v22, 1.0
	v_div_scale_f32 v25, vcc_lo, 1.0, v22, 1.0
	s_delay_alu instid0(VALU_DEP_2) | instskip(SKIP_1) | instid1(TRANS32_DEP_1)
	v_rcp_f32_e32 v24, v23
	v_nop
	v_fma_f32 v18, -v23, v24, 1.0
	s_delay_alu instid0(VALU_DEP_1) | instskip(NEXT) | instid1(VALU_DEP_1)
	v_fmac_f32_e32 v24, v18, v24
	v_mul_f32_e32 v26, v25, v24
	s_wait_loadcnt 0x5
	v_pk_mul_f32 v[18:19], v[12:13], v[20:21] op_sel:[1,1] op_sel_hi:[1,0] neg_lo:[0,1]
	s_delay_alu instid0(VALU_DEP_1) | instskip(SKIP_1) | instid1(VALU_DEP_1)
	v_pk_fma_f32 v[12:13], v[20:21], v[12:13], v[18:19] op_sel_hi:[1,0,1]
	s_wait_loadcnt 0x2
	v_pk_add_f32 v[6:7], v[6:7], v[12:13] neg_lo:[0,1] neg_hi:[0,1]
	v_pk_mul_f32 v[18:19], v[10:11], v[14:15] op_sel:[1,1] op_sel_hi:[1,0] neg_lo:[0,1]
	s_wait_loadcnt 0x0
	v_pk_mul_f32 v[12:13], v[16:17], v[8:9] op_sel:[1,1] op_sel_hi:[1,0] neg_lo:[0,1]
	s_delay_alu instid0(VALU_DEP_2) | instskip(NEXT) | instid1(VALU_DEP_2)
	v_pk_fma_f32 v[10:11], v[14:15], v[10:11], v[18:19] op_sel_hi:[1,0,1]
	v_pk_fma_f32 v[8:9], v[8:9], v[16:17], v[12:13] op_sel_hi:[1,0,1]
	s_delay_alu instid0(VALU_DEP_2) | instskip(SKIP_2) | instid1(VALU_DEP_3)
	v_pk_add_f32 v[6:7], v[6:7], v[10:11] neg_lo:[0,1] neg_hi:[0,1]
	v_dual_mov_b32 v11, v4 :: v_dual_fma_f32 v20, -v23, v26, v25
	v_xor_b32_e32 v10, 0x80000000, v5
	v_pk_add_f32 v[6:7], v[6:7], v[8:9] neg_lo:[0,1] neg_hi:[0,1]
	s_delay_alu instid0(VALU_DEP_3) | instskip(NEXT) | instid1(VALU_DEP_3)
	v_fmac_f32_e32 v26, v20, v24
	v_pk_mul_f32 v[10:11], v[56:57], v[10:11] op_sel_hi:[0,1]
	s_delay_alu instid0(VALU_DEP_3) | instskip(NEXT) | instid1(VALU_DEP_3)
	v_pk_mul_f32 v[8:9], v[30:31], v[6:7] op_sel:[1,1] op_sel_hi:[1,0] neg_hi:[0,1]
	v_fma_f32 v12, -v23, v26, v25
	s_delay_alu instid0(VALU_DEP_3) | instskip(NEXT) | instid1(VALU_DEP_3)
	v_pk_fma_f32 v[4:5], v[4:5], v[54:55], v[10:11] op_sel_hi:[1,0,1]
	v_pk_fma_f32 v[6:7], v[6:7], v[30:31], v[8:9] op_sel_hi:[1,0,1]
	s_delay_alu instid0(VALU_DEP_3) | instskip(NEXT) | instid1(VALU_DEP_1)
	v_div_fmas_f32 v12, v12, v24, v26
	v_div_fixup_f32 v12, v12, v22, 1.0
	s_delay_alu instid0(VALU_DEP_1)
	v_pk_mul_f32 v[6:7], v[12:13], v[6:7] op_sel_hi:[0,1]
	global_store_b64 v[2:3], v[4:5], off
	global_store_b64 v1, v[6:7], s[2:3] scale_offset
	s_cbranch_scc1 .LBB8_25
; %bb.23:
	s_add_co_i32 s4, s16, -5
	s_add_co_i32 s0, s16, -4
	;; [unrolled: 1-line block ×3, first 2 shown]
	s_wait_xcnt 0x0
	v_mad_u32 v1, s17, s4, v0
	v_mad_u32 v2, s18, s0, v0
	;; [unrolled: 1-line block ×5, first 2 shown]
	v_add_nc_u32_e32 v0, s1, v0
.LBB8_24:                               ; =>This Inner Loop Header: Depth=1
	s_wait_xcnt 0x0
	s_delay_alu instid0(VALU_DEP_2)
	v_dual_add_nc_u32 v34, s19, v5 :: v_dual_add_nc_u32 v26, s19, v2
	v_dual_add_nc_u32 v27, s19, v3 :: v_dual_add_nc_u32 v28, s19, v1
	v_subrev_nc_u32_e32 v1, s17, v1
	s_clause 0x2
	global_load_b64 v[6:7], v34, s[6:7] scale_offset
	global_load_b64 v[8:9], v34, s[8:9] scale_offset
	;; [unrolled: 1-line block ×3, first 2 shown]
	v_add_nc_u32_e32 v29, s19, v4
	v_subrev_nc_u32_e32 v2, s18, v2
	v_subrev_nc_u32_e32 v3, s18, v3
	;; [unrolled: 1-line block ×4, first 2 shown]
	s_add_co_i32 s0, s0, -1
	s_delay_alu instid0(SALU_CYCLE_1) | instskip(SKIP_3) | instid1(VALU_DEP_2)
	s_cmp_lg_u32 s0, 0
	s_wait_loadcnt 0x2
	v_dual_mul_f32 v35, v7, v7 :: v_dual_add_nc_u32 v30, s19, v0
	v_subrev_nc_u32_e32 v0, s18, v0
	v_fmac_f32_e32 v35, v6, v6
	s_clause 0x3
	global_load_b64 v[12:13], v34, s[2:3] scale_offset
	global_load_b64 v[14:15], v26, s[2:3] scale_offset
	;; [unrolled: 1-line block ×4, first 2 shown]
	s_clause 0x1
	global_load_b64 v[20:21], v28, s[12:13] scale_offset
	global_load_b64 v[22:23], v28, s[14:15] scale_offset
	;; [unrolled: 1-line block ×3, first 2 shown]
	v_div_scale_f32 v36, null, v35, v35, 1.0
	s_delay_alu instid0(VALU_DEP_1) | instskip(SKIP_1) | instid1(TRANS32_DEP_1)
	v_rcp_f32_e32 v37, v36
	v_nop
	v_fma_f32 v38, -v36, v37, 1.0
	s_wait_loadcnt 0x5
	s_wait_xcnt 0x4
	v_pk_mul_f32 v[26:27], v[14:15], v[8:9] op_sel:[1,1] op_sel_hi:[1,0] neg_lo:[0,1]
	s_wait_loadcnt 0x4
	s_wait_xcnt 0x1
	v_pk_mul_f32 v[28:29], v[16:17], v[10:11] op_sel:[1,1] op_sel_hi:[1,0] neg_lo:[0,1]
	;; [unrolled: 3-line block ×3, first 2 shown]
	v_pk_fma_f32 v[8:9], v[8:9], v[14:15], v[26:27] op_sel_hi:[1,0,1]
	v_div_scale_f32 v14, vcc_lo, 1.0, v35, 1.0
	v_fmac_f32_e32 v37, v38, v37
	v_pk_fma_f32 v[10:11], v[10:11], v[16:17], v[28:29] op_sel_hi:[1,0,1]
	s_delay_alu instid0(VALU_DEP_4)
	v_pk_add_f32 v[8:9], v[12:13], v[8:9] neg_lo:[0,1] neg_hi:[0,1]
	s_wait_loadcnt 0x0
	v_pk_mul_f32 v[32:33], v[24:25], v[22:23] op_sel:[1,1] op_sel_hi:[1,0] neg_lo:[0,1]
	v_pk_fma_f32 v[12:13], v[20:21], v[18:19], v[30:31] op_sel_hi:[1,0,1]
	v_mul_f32_e32 v15, v14, v37
	v_pk_add_f32 v[8:9], v[8:9], v[10:11] neg_lo:[0,1] neg_hi:[0,1]
	s_delay_alu instid0(VALU_DEP_4) | instskip(NEXT) | instid1(VALU_DEP_3)
	v_pk_fma_f32 v[10:11], v[22:23], v[24:25], v[32:33] op_sel_hi:[1,0,1]
	v_fma_f32 v16, -v36, v15, v14
	s_delay_alu instid0(VALU_DEP_3) | instskip(NEXT) | instid1(VALU_DEP_2)
	v_pk_add_f32 v[8:9], v[8:9], v[12:13] neg_lo:[0,1] neg_hi:[0,1]
	v_fmac_f32_e32 v15, v16, v37
	s_delay_alu instid0(VALU_DEP_2) | instskip(NEXT) | instid1(VALU_DEP_2)
	v_pk_add_f32 v[8:9], v[8:9], v[10:11] neg_lo:[0,1] neg_hi:[0,1]
	v_fma_f32 v12, -v36, v15, v14
	s_delay_alu instid0(VALU_DEP_2) | instskip(NEXT) | instid1(VALU_DEP_2)
	v_pk_mul_f32 v[10:11], v[6:7], v[8:9] op_sel:[1,1] op_sel_hi:[1,0] neg_hi:[0,1]
	v_div_fmas_f32 v12, v12, v37, v15
	s_delay_alu instid0(VALU_DEP_2) | instskip(NEXT) | instid1(VALU_DEP_2)
	v_pk_fma_f32 v[6:7], v[8:9], v[6:7], v[10:11] op_sel_hi:[1,0,1]
	v_div_fixup_f32 v8, v12, v35, 1.0
	s_delay_alu instid0(VALU_DEP_1)
	v_pk_mul_f32 v[6:7], v[8:9], v[6:7] op_sel_hi:[0,1]
	global_store_b64 v34, v[6:7], s[2:3] scale_offset
	s_cbranch_scc1 .LBB8_24
.LBB8_25:
	s_sendmsg sendmsg(MSG_DEALLOC_VGPRS)
	s_endpgm
	.section	.rodata,"a",@progbits
	.p2align	6, 0x0
	.amdhsa_kernel _ZN9rocsparseL39gpsv_interleaved_batch_givens_qr_kernelILj128E21rocsparse_complex_numIfEEEviiiPT0_S4_S4_S4_S4_S4_S4_S4_
		.amdhsa_group_segment_fixed_size 0
		.amdhsa_private_segment_fixed_size 0
		.amdhsa_kernarg_size 80
		.amdhsa_user_sgpr_count 2
		.amdhsa_user_sgpr_dispatch_ptr 0
		.amdhsa_user_sgpr_queue_ptr 0
		.amdhsa_user_sgpr_kernarg_segment_ptr 1
		.amdhsa_user_sgpr_dispatch_id 0
		.amdhsa_user_sgpr_kernarg_preload_length 0
		.amdhsa_user_sgpr_kernarg_preload_offset 0
		.amdhsa_user_sgpr_private_segment_size 0
		.amdhsa_wavefront_size32 1
		.amdhsa_uses_dynamic_stack 0
		.amdhsa_enable_private_segment 0
		.amdhsa_system_sgpr_workgroup_id_x 1
		.amdhsa_system_sgpr_workgroup_id_y 0
		.amdhsa_system_sgpr_workgroup_id_z 0
		.amdhsa_system_sgpr_workgroup_info 0
		.amdhsa_system_vgpr_workitem_id 0
		.amdhsa_next_free_vgpr 66
		.amdhsa_next_free_sgpr 26
		.amdhsa_named_barrier_count 0
		.amdhsa_reserve_vcc 1
		.amdhsa_float_round_mode_32 0
		.amdhsa_float_round_mode_16_64 0
		.amdhsa_float_denorm_mode_32 3
		.amdhsa_float_denorm_mode_16_64 3
		.amdhsa_fp16_overflow 0
		.amdhsa_memory_ordered 1
		.amdhsa_forward_progress 1
		.amdhsa_inst_pref_size 56
		.amdhsa_round_robin_scheduling 0
		.amdhsa_exception_fp_ieee_invalid_op 0
		.amdhsa_exception_fp_denorm_src 0
		.amdhsa_exception_fp_ieee_div_zero 0
		.amdhsa_exception_fp_ieee_overflow 0
		.amdhsa_exception_fp_ieee_underflow 0
		.amdhsa_exception_fp_ieee_inexact 0
		.amdhsa_exception_int_div_zero 0
	.end_amdhsa_kernel
	.section	.text._ZN9rocsparseL39gpsv_interleaved_batch_givens_qr_kernelILj128E21rocsparse_complex_numIfEEEviiiPT0_S4_S4_S4_S4_S4_S4_S4_,"axG",@progbits,_ZN9rocsparseL39gpsv_interleaved_batch_givens_qr_kernelILj128E21rocsparse_complex_numIfEEEviiiPT0_S4_S4_S4_S4_S4_S4_S4_,comdat
.Lfunc_end8:
	.size	_ZN9rocsparseL39gpsv_interleaved_batch_givens_qr_kernelILj128E21rocsparse_complex_numIfEEEviiiPT0_S4_S4_S4_S4_S4_S4_S4_, .Lfunc_end8-_ZN9rocsparseL39gpsv_interleaved_batch_givens_qr_kernelILj128E21rocsparse_complex_numIfEEEviiiPT0_S4_S4_S4_S4_S4_S4_S4_
                                        ; -- End function
	.set _ZN9rocsparseL39gpsv_interleaved_batch_givens_qr_kernelILj128E21rocsparse_complex_numIfEEEviiiPT0_S4_S4_S4_S4_S4_S4_S4_.num_vgpr, 66
	.set _ZN9rocsparseL39gpsv_interleaved_batch_givens_qr_kernelILj128E21rocsparse_complex_numIfEEEviiiPT0_S4_S4_S4_S4_S4_S4_S4_.num_agpr, 0
	.set _ZN9rocsparseL39gpsv_interleaved_batch_givens_qr_kernelILj128E21rocsparse_complex_numIfEEEviiiPT0_S4_S4_S4_S4_S4_S4_S4_.numbered_sgpr, 26
	.set _ZN9rocsparseL39gpsv_interleaved_batch_givens_qr_kernelILj128E21rocsparse_complex_numIfEEEviiiPT0_S4_S4_S4_S4_S4_S4_S4_.num_named_barrier, 0
	.set _ZN9rocsparseL39gpsv_interleaved_batch_givens_qr_kernelILj128E21rocsparse_complex_numIfEEEviiiPT0_S4_S4_S4_S4_S4_S4_S4_.private_seg_size, 0
	.set _ZN9rocsparseL39gpsv_interleaved_batch_givens_qr_kernelILj128E21rocsparse_complex_numIfEEEviiiPT0_S4_S4_S4_S4_S4_S4_S4_.uses_vcc, 1
	.set _ZN9rocsparseL39gpsv_interleaved_batch_givens_qr_kernelILj128E21rocsparse_complex_numIfEEEviiiPT0_S4_S4_S4_S4_S4_S4_S4_.uses_flat_scratch, 0
	.set _ZN9rocsparseL39gpsv_interleaved_batch_givens_qr_kernelILj128E21rocsparse_complex_numIfEEEviiiPT0_S4_S4_S4_S4_S4_S4_S4_.has_dyn_sized_stack, 0
	.set _ZN9rocsparseL39gpsv_interleaved_batch_givens_qr_kernelILj128E21rocsparse_complex_numIfEEEviiiPT0_S4_S4_S4_S4_S4_S4_S4_.has_recursion, 0
	.set _ZN9rocsparseL39gpsv_interleaved_batch_givens_qr_kernelILj128E21rocsparse_complex_numIfEEEviiiPT0_S4_S4_S4_S4_S4_S4_S4_.has_indirect_call, 0
	.section	.AMDGPU.csdata,"",@progbits
; Kernel info:
; codeLenInByte = 7064
; TotalNumSgprs: 28
; NumVgprs: 66
; ScratchSize: 0
; MemoryBound: 0
; FloatMode: 240
; IeeeMode: 1
; LDSByteSize: 0 bytes/workgroup (compile time only)
; SGPRBlocks: 0
; VGPRBlocks: 4
; NumSGPRsForWavesPerEU: 28
; NumVGPRsForWavesPerEU: 66
; NamedBarCnt: 0
; Occupancy: 12
; WaveLimiterHint : 0
; COMPUTE_PGM_RSRC2:SCRATCH_EN: 0
; COMPUTE_PGM_RSRC2:USER_SGPR: 2
; COMPUTE_PGM_RSRC2:TRAP_HANDLER: 0
; COMPUTE_PGM_RSRC2:TGID_X_EN: 1
; COMPUTE_PGM_RSRC2:TGID_Y_EN: 0
; COMPUTE_PGM_RSRC2:TGID_Z_EN: 0
; COMPUTE_PGM_RSRC2:TIDIG_COMP_CNT: 0
	.section	.text._ZN9rocsparseL19gpsv_strided_gatherILj256E21rocsparse_complex_numIdEEEviiiPKT0_PS3_,"axG",@progbits,_ZN9rocsparseL19gpsv_strided_gatherILj256E21rocsparse_complex_numIdEEEviiiPKT0_PS3_,comdat
	.globl	_ZN9rocsparseL19gpsv_strided_gatherILj256E21rocsparse_complex_numIdEEEviiiPKT0_PS3_ ; -- Begin function _ZN9rocsparseL19gpsv_strided_gatherILj256E21rocsparse_complex_numIdEEEviiiPKT0_PS3_
	.p2align	8
	.type	_ZN9rocsparseL19gpsv_strided_gatherILj256E21rocsparse_complex_numIdEEEviiiPKT0_PS3_,@function
_ZN9rocsparseL19gpsv_strided_gatherILj256E21rocsparse_complex_numIdEEEviiiPKT0_PS3_: ; @_ZN9rocsparseL19gpsv_strided_gatherILj256E21rocsparse_complex_numIdEEEviiiPKT0_PS3_
; %bb.0:
	s_clause 0x1
	s_load_b32 s2, s[0:1], 0x2c
	s_load_b96 s[4:6], s[0:1], 0x0
	s_bfe_u32 s3, ttmp6, 0x4000c
	s_and_b32 s7, ttmp6, 15
	s_add_co_i32 s3, s3, 1
	s_getreg_b32 s8, hwreg(HW_REG_IB_STS2, 6, 4)
	s_mul_i32 s3, ttmp9, s3
	s_delay_alu instid0(SALU_CYCLE_1)
	s_add_co_i32 s7, s7, s3
	s_wait_kmcnt 0x0
	s_and_b32 s2, s2, 0xffff
	s_cmp_eq_u32 s8, 0
	s_cselect_b32 s3, ttmp9, s7
	s_cmp_gt_i32 s4, 0
	v_mad_u32 v0, s3, s2, v0
	s_cselect_b32 s2, -1, 0
	s_delay_alu instid0(VALU_DEP_1) | instskip(SKIP_1) | instid1(SALU_CYCLE_1)
	v_cmp_gt_i32_e32 vcc_lo, s5, v0
	s_and_b32 s2, vcc_lo, s2
	s_and_saveexec_b32 s3, s2
	s_cbranch_execz .LBB9_3
; %bb.1:
	s_load_b128 s[0:3], s[0:1], 0x10
	v_mov_b32_e32 v1, v0
.LBB9_2:                                ; =>This Inner Loop Header: Depth=1
	s_wait_kmcnt 0x0
	global_load_b128 v[2:5], v0, s[0:1] scale_offset
	s_wait_xcnt 0x0
	v_add_nc_u32_e32 v0, s6, v0
	s_add_co_i32 s4, s4, -1
	s_delay_alu instid0(SALU_CYCLE_1)
	s_cmp_lg_u32 s4, 0
	s_wait_loadcnt 0x0
	global_store_b128 v1, v[2:5], s[2:3] scale_offset
	s_wait_xcnt 0x0
	v_add_nc_u32_e32 v1, s5, v1
	s_cbranch_scc1 .LBB9_2
.LBB9_3:
	s_endpgm
	.section	.rodata,"a",@progbits
	.p2align	6, 0x0
	.amdhsa_kernel _ZN9rocsparseL19gpsv_strided_gatherILj256E21rocsparse_complex_numIdEEEviiiPKT0_PS3_
		.amdhsa_group_segment_fixed_size 0
		.amdhsa_private_segment_fixed_size 0
		.amdhsa_kernarg_size 288
		.amdhsa_user_sgpr_count 2
		.amdhsa_user_sgpr_dispatch_ptr 0
		.amdhsa_user_sgpr_queue_ptr 0
		.amdhsa_user_sgpr_kernarg_segment_ptr 1
		.amdhsa_user_sgpr_dispatch_id 0
		.amdhsa_user_sgpr_kernarg_preload_length 0
		.amdhsa_user_sgpr_kernarg_preload_offset 0
		.amdhsa_user_sgpr_private_segment_size 0
		.amdhsa_wavefront_size32 1
		.amdhsa_uses_dynamic_stack 0
		.amdhsa_enable_private_segment 0
		.amdhsa_system_sgpr_workgroup_id_x 1
		.amdhsa_system_sgpr_workgroup_id_y 0
		.amdhsa_system_sgpr_workgroup_id_z 0
		.amdhsa_system_sgpr_workgroup_info 0
		.amdhsa_system_vgpr_workitem_id 0
		.amdhsa_next_free_vgpr 6
		.amdhsa_next_free_sgpr 9
		.amdhsa_named_barrier_count 0
		.amdhsa_reserve_vcc 1
		.amdhsa_float_round_mode_32 0
		.amdhsa_float_round_mode_16_64 0
		.amdhsa_float_denorm_mode_32 3
		.amdhsa_float_denorm_mode_16_64 3
		.amdhsa_fp16_overflow 0
		.amdhsa_memory_ordered 1
		.amdhsa_forward_progress 1
		.amdhsa_inst_pref_size 2
		.amdhsa_round_robin_scheduling 0
		.amdhsa_exception_fp_ieee_invalid_op 0
		.amdhsa_exception_fp_denorm_src 0
		.amdhsa_exception_fp_ieee_div_zero 0
		.amdhsa_exception_fp_ieee_overflow 0
		.amdhsa_exception_fp_ieee_underflow 0
		.amdhsa_exception_fp_ieee_inexact 0
		.amdhsa_exception_int_div_zero 0
	.end_amdhsa_kernel
	.section	.text._ZN9rocsparseL19gpsv_strided_gatherILj256E21rocsparse_complex_numIdEEEviiiPKT0_PS3_,"axG",@progbits,_ZN9rocsparseL19gpsv_strided_gatherILj256E21rocsparse_complex_numIdEEEviiiPKT0_PS3_,comdat
.Lfunc_end9:
	.size	_ZN9rocsparseL19gpsv_strided_gatherILj256E21rocsparse_complex_numIdEEEviiiPKT0_PS3_, .Lfunc_end9-_ZN9rocsparseL19gpsv_strided_gatherILj256E21rocsparse_complex_numIdEEEviiiPKT0_PS3_
                                        ; -- End function
	.set _ZN9rocsparseL19gpsv_strided_gatherILj256E21rocsparse_complex_numIdEEEviiiPKT0_PS3_.num_vgpr, 6
	.set _ZN9rocsparseL19gpsv_strided_gatherILj256E21rocsparse_complex_numIdEEEviiiPKT0_PS3_.num_agpr, 0
	.set _ZN9rocsparseL19gpsv_strided_gatherILj256E21rocsparse_complex_numIdEEEviiiPKT0_PS3_.numbered_sgpr, 9
	.set _ZN9rocsparseL19gpsv_strided_gatherILj256E21rocsparse_complex_numIdEEEviiiPKT0_PS3_.num_named_barrier, 0
	.set _ZN9rocsparseL19gpsv_strided_gatherILj256E21rocsparse_complex_numIdEEEviiiPKT0_PS3_.private_seg_size, 0
	.set _ZN9rocsparseL19gpsv_strided_gatherILj256E21rocsparse_complex_numIdEEEviiiPKT0_PS3_.uses_vcc, 1
	.set _ZN9rocsparseL19gpsv_strided_gatherILj256E21rocsparse_complex_numIdEEEviiiPKT0_PS3_.uses_flat_scratch, 0
	.set _ZN9rocsparseL19gpsv_strided_gatherILj256E21rocsparse_complex_numIdEEEviiiPKT0_PS3_.has_dyn_sized_stack, 0
	.set _ZN9rocsparseL19gpsv_strided_gatherILj256E21rocsparse_complex_numIdEEEviiiPKT0_PS3_.has_recursion, 0
	.set _ZN9rocsparseL19gpsv_strided_gatherILj256E21rocsparse_complex_numIdEEEviiiPKT0_PS3_.has_indirect_call, 0
	.section	.AMDGPU.csdata,"",@progbits
; Kernel info:
; codeLenInByte = 188
; TotalNumSgprs: 11
; NumVgprs: 6
; ScratchSize: 0
; MemoryBound: 0
; FloatMode: 240
; IeeeMode: 1
; LDSByteSize: 0 bytes/workgroup (compile time only)
; SGPRBlocks: 0
; VGPRBlocks: 0
; NumSGPRsForWavesPerEU: 11
; NumVGPRsForWavesPerEU: 6
; NamedBarCnt: 0
; Occupancy: 16
; WaveLimiterHint : 0
; COMPUTE_PGM_RSRC2:SCRATCH_EN: 0
; COMPUTE_PGM_RSRC2:USER_SGPR: 2
; COMPUTE_PGM_RSRC2:TRAP_HANDLER: 0
; COMPUTE_PGM_RSRC2:TGID_X_EN: 1
; COMPUTE_PGM_RSRC2:TGID_Y_EN: 0
; COMPUTE_PGM_RSRC2:TGID_Z_EN: 0
; COMPUTE_PGM_RSRC2:TIDIG_COMP_CNT: 0
	.section	.text._ZN9rocsparseL44gpsv_interleaved_batch_householder_qr_kernelILj256E21rocsparse_complex_numIdEEEviiiPT0_S4_S4_S4_S4_S4_S4_S4_S4_,"axG",@progbits,_ZN9rocsparseL44gpsv_interleaved_batch_householder_qr_kernelILj256E21rocsparse_complex_numIdEEEviiiPT0_S4_S4_S4_S4_S4_S4_S4_S4_,comdat
	.globl	_ZN9rocsparseL44gpsv_interleaved_batch_householder_qr_kernelILj256E21rocsparse_complex_numIdEEEviiiPT0_S4_S4_S4_S4_S4_S4_S4_S4_ ; -- Begin function _ZN9rocsparseL44gpsv_interleaved_batch_householder_qr_kernelILj256E21rocsparse_complex_numIdEEEviiiPT0_S4_S4_S4_S4_S4_S4_S4_S4_
	.p2align	8
	.type	_ZN9rocsparseL44gpsv_interleaved_batch_householder_qr_kernelILj256E21rocsparse_complex_numIdEEEviiiPT0_S4_S4_S4_S4_S4_S4_S4_S4_,@function
_ZN9rocsparseL44gpsv_interleaved_batch_householder_qr_kernelILj256E21rocsparse_complex_numIdEEEviiiPT0_S4_S4_S4_S4_S4_S4_S4_S4_: ; @_ZN9rocsparseL44gpsv_interleaved_batch_householder_qr_kernelILj256E21rocsparse_complex_numIdEEEviiiPT0_S4_S4_S4_S4_S4_S4_S4_S4_
; %bb.0:
	s_clause 0x1
	s_load_b32 s2, s[0:1], 0x64
	s_load_b96 s[20:22], s[0:1], 0x0
	s_bfe_u32 s3, ttmp6, 0x4000c
	s_and_b32 s4, ttmp6, 15
	s_add_co_i32 s3, s3, 1
	s_getreg_b32 s5, hwreg(HW_REG_IB_STS2, 6, 4)
	s_mul_i32 s3, ttmp9, s3
	s_delay_alu instid0(SALU_CYCLE_1) | instskip(SKIP_4) | instid1(SALU_CYCLE_1)
	s_add_co_i32 s4, s4, s3
	s_wait_kmcnt 0x0
	s_and_b32 s2, s2, 0xffff
	s_cmp_eq_u32 s5, 0
	s_cselect_b32 s5, ttmp9, s4
	s_mul_i32 s5, s5, s2
	s_mov_b32 s2, exec_lo
	v_add_nc_u32_e32 v1, s5, v0
	s_delay_alu instid0(VALU_DEP_1)
	v_cmpx_gt_i32_e64 s21, v1
	s_cbranch_execz .LBB10_32
; %bb.1:
	s_clause 0x3
	s_load_b64 s[6:7], s[0:1], 0x50
	s_load_b128 s[8:11], s[0:1], 0x40
	s_load_b128 s[12:15], s[0:1], 0x20
	s_load_b64 s[24:25], s[0:1], 0x30
	s_add_co_i32 s23, s20, -1
	s_cmp_lt_i32 s20, 2
	s_cbranch_scc1 .LBB10_19
; %bb.2:
	s_load_b128 s[16:19], s[0:1], 0x10
	v_dual_add_nc_u32 v1, s21, v0 :: v_dual_add_nc_u32 v71, s22, v0
	v_lshl_add_u32 v70, s21, 1, v0
	v_lshl_add_u32 v72, s22, 1, v0
	v_dual_mov_b32 v73, v0 :: v_dual_mov_b32 v74, v0
	s_mov_b32 s26, s23
	s_branch .LBB10_4
.LBB10_3:                               ;   in Loop: Header=BB10_4 Depth=1
	s_wait_xcnt 0x0
	s_or_b32 exec_lo, exec_lo, s28
	v_dual_add_nc_u32 v1, s21, v1 :: v_dual_add_nc_u32 v70, s21, v70
	v_dual_add_nc_u32 v74, s21, v74 :: v_dual_add_nc_u32 v71, s22, v71
	;; [unrolled: 1-line block ×3, first 2 shown]
	s_add_co_i32 s26, s26, -1
	s_delay_alu instid0(SALU_CYCLE_1)
	s_cmp_eq_u32 s26, 0
	s_cbranch_scc1 .LBB10_19
.LBB10_4:                               ; =>This Inner Loop Header: Depth=1
	v_dual_add_nc_u32 v60, s5, v71 :: v_dual_add_nc_u32 v58, s5, v1
	s_wait_loadcnt 0x0
	v_mov_b64_e32 v[2:3], 0
	v_mov_b64_e32 v[4:5], 0
	;; [unrolled: 1-line block ×3, first 2 shown]
	s_wait_kmcnt 0x0
	s_clause 0x3
	global_load_b128 v[38:41], v60, s[18:19] scale_offset
	global_load_b128 v[30:33], v60, s[14:15] scale_offset
	;; [unrolled: 1-line block ×5, first 2 shown]
	v_mov_b64_e32 v[8:9], 0
	v_mov_b64_e32 v[10:11], 0
	;; [unrolled: 1-line block ×9, first 2 shown]
	v_dual_add_nc_u32 v76, s5, v72 :: v_dual_add_nc_u32 v75, s5, v70
	s_cmp_lg_u32 s26, 1
	s_cselect_b32 s27, -1, 0
	s_cmp_eq_u32 s26, 1
	s_cbranch_scc1 .LBB10_6
; %bb.5:                                ;   in Loop: Header=BB10_4 Depth=1
	s_clause 0x4
	global_load_b128 v[14:17], v76, s[18:19] scale_offset
	global_load_b128 v[42:45], v76, s[16:17] scale_offset
	;; [unrolled: 1-line block ×6, first 2 shown]
.LBB10_6:                               ;   in Loop: Header=BB10_4 Depth=1
	s_wait_loadcnt 0x4
	v_mul_f64_e64 v[46:47], v[44:45], -v[44:45]
	v_mul_f64_e32 v[52:53], v[42:43], v[44:45]
	s_delay_alu instid0(VALU_DEP_2) | instskip(NEXT) | instid1(VALU_DEP_2)
	v_fmac_f64_e32 v[46:47], v[42:43], v[42:43]
	v_fmac_f64_e32 v[52:53], v[44:45], v[42:43]
	s_delay_alu instid0(VALU_DEP_2) | instskip(NEXT) | instid1(VALU_DEP_2)
	v_fmac_f64_e32 v[46:47], v[38:39], v[38:39]
	v_fmac_f64_e32 v[52:53], v[40:41], v[38:39]
	s_delay_alu instid0(VALU_DEP_2) | instskip(NEXT) | instid1(VALU_DEP_2)
	v_fma_f64 v[50:51], -v[40:41], v[40:41], v[46:47]
	v_fmac_f64_e32 v[52:53], v[38:39], v[40:41]
	s_delay_alu instid0(VALU_DEP_2) | instskip(NEXT) | instid1(VALU_DEP_2)
	v_cmp_neq_f64_e32 vcc_lo, 0, v[50:51]
	v_cmp_neq_f64_e64 s2, 0, v[52:53]
	s_or_b32 s2, vcc_lo, s2
	s_wait_xcnt 0x0
	s_and_saveexec_b32 s28, s2
	s_cbranch_execz .LBB10_3
; %bb.7:                                ;   in Loop: Header=BB10_4 Depth=1
	v_add_nc_u32_e32 v62, s5, v73
	s_mov_b32 s3, exec_lo
                                        ; implicit-def: $vgpr66_vgpr67
	global_load_b128 v[46:49], v62, s[12:13] scale_offset
	s_wait_loadcnt 0x0
	v_fma_f64 v[54:55], v[46:47], v[46:47], v[50:51]
	s_delay_alu instid0(VALU_DEP_1) | instskip(NEXT) | instid1(VALU_DEP_1)
	v_fma_f64 v[54:55], -v[48:49], v[48:49], v[54:55]
	v_dual_fma_f64 v[68:69], v[48:49], v[46:47], v[52:53] :: v_dual_mov_b32 v56, v54
	s_delay_alu instid0(VALU_DEP_1) | instskip(NEXT) | instid1(VALU_DEP_3)
	v_fmac_f64_e32 v[68:69], v[46:47], v[48:49]
	v_cmp_gt_f64_e32 vcc_lo, 0, v[54:55]
	v_xor_b32_e32 v57, 0x80000000, v55
	s_delay_alu instid0(VALU_DEP_3) | instskip(SKIP_1) | instid1(VALU_DEP_3)
	v_cmp_gt_f64_e64 s2, 0, v[68:69]
	v_xor_b32_e32 v59, 0x80000000, v69
	v_dual_cndmask_b32 v57, v55, v57 :: v_dual_mov_b32 v64, v68
	s_delay_alu instid0(VALU_DEP_2) | instskip(SKIP_1) | instid1(VALU_DEP_1)
	v_cndmask_b32_e64 v65, v69, v59, s2
	s_wait_xcnt 0x0
	v_cmpx_ngt_f64_e32 v[56:57], v[64:65]
	s_xor_b32 s3, exec_lo, s3
	s_cbranch_execz .LBB10_11
; %bb.8:                                ;   in Loop: Header=BB10_4 Depth=1
	v_mov_b64_e32 v[66:67], 0
	s_mov_b32 s4, exec_lo
	v_cmpx_neq_f64_e32 0, v[68:69]
	s_cbranch_execz .LBB10_10
; %bb.9:                                ;   in Loop: Header=BB10_4 Depth=1
	v_div_scale_f64 v[66:67], null, v[64:65], v[64:65], v[56:57]
	v_div_scale_f64 v[80:81], vcc_lo, v[56:57], v[64:65], v[56:57]
	s_delay_alu instid0(VALU_DEP_2) | instskip(SKIP_1) | instid1(TRANS32_DEP_1)
	v_rcp_f64_e32 v[68:69], v[66:67]
	v_nop
	v_fma_f64 v[78:79], -v[66:67], v[68:69], 1.0
	s_delay_alu instid0(VALU_DEP_1) | instskip(NEXT) | instid1(VALU_DEP_1)
	v_fmac_f64_e32 v[68:69], v[68:69], v[78:79]
	v_fma_f64 v[78:79], -v[66:67], v[68:69], 1.0
	s_delay_alu instid0(VALU_DEP_1) | instskip(NEXT) | instid1(VALU_DEP_1)
	v_fmac_f64_e32 v[68:69], v[68:69], v[78:79]
	v_mul_f64_e32 v[78:79], v[80:81], v[68:69]
	s_delay_alu instid0(VALU_DEP_1) | instskip(NEXT) | instid1(VALU_DEP_1)
	v_fma_f64 v[66:67], -v[66:67], v[78:79], v[80:81]
	v_div_fmas_f64 v[66:67], v[66:67], v[68:69], v[78:79]
	s_delay_alu instid0(VALU_DEP_1) | instskip(NEXT) | instid1(VALU_DEP_1)
	v_div_fixup_f64 v[56:57], v[66:67], v[64:65], v[56:57]
	v_fma_f64 v[56:57], v[56:57], v[56:57], 1.0
	s_delay_alu instid0(VALU_DEP_1) | instskip(SKIP_1) | instid1(VALU_DEP_1)
	v_cmp_gt_f64_e32 vcc_lo, 0x10000000, v[56:57]
	v_cndmask_b32_e64 v59, 0, 0x100, vcc_lo
	v_ldexp_f64 v[56:57], v[56:57], v59
	v_cndmask_b32_e64 v59, 0, 0xffffff80, vcc_lo
	s_delay_alu instid0(VALU_DEP_2) | instskip(SKIP_1) | instid1(TRANS32_DEP_1)
	v_rsq_f64_e32 v[66:67], v[56:57]
	v_cmp_class_f64_e64 vcc_lo, v[56:57], 0x260
	v_mul_f64_e32 v[68:69], v[56:57], v[66:67]
	v_mul_f64_e32 v[66:67], 0.5, v[66:67]
	s_delay_alu instid0(VALU_DEP_1) | instskip(NEXT) | instid1(VALU_DEP_1)
	v_fma_f64 v[78:79], -v[66:67], v[68:69], 0.5
	v_fmac_f64_e32 v[68:69], v[68:69], v[78:79]
	v_fmac_f64_e32 v[66:67], v[66:67], v[78:79]
	s_delay_alu instid0(VALU_DEP_2) | instskip(NEXT) | instid1(VALU_DEP_1)
	v_fma_f64 v[78:79], -v[68:69], v[68:69], v[56:57]
	v_fmac_f64_e32 v[68:69], v[78:79], v[66:67]
	s_delay_alu instid0(VALU_DEP_1) | instskip(NEXT) | instid1(VALU_DEP_1)
	v_fma_f64 v[78:79], -v[68:69], v[68:69], v[56:57]
	v_fmac_f64_e32 v[68:69], v[78:79], v[66:67]
	s_delay_alu instid0(VALU_DEP_1) | instskip(NEXT) | instid1(VALU_DEP_1)
	v_ldexp_f64 v[66:67], v[68:69], v59
	v_dual_cndmask_b32 v57, v67, v57 :: v_dual_cndmask_b32 v56, v66, v56
	s_delay_alu instid0(VALU_DEP_1)
	v_mul_f64_e32 v[66:67], v[64:65], v[56:57]
.LBB10_10:                              ;   in Loop: Header=BB10_4 Depth=1
	s_or_b32 exec_lo, exec_lo, s4
                                        ; implicit-def: $vgpr56_vgpr57
                                        ; implicit-def: $vgpr64_vgpr65
.LBB10_11:                              ;   in Loop: Header=BB10_4 Depth=1
	s_and_not1_saveexec_b32 s3, s3
	s_cbranch_execz .LBB10_13
; %bb.12:                               ;   in Loop: Header=BB10_4 Depth=1
	v_div_scale_f64 v[66:67], null, v[56:57], v[56:57], v[64:65]
	v_div_scale_f64 v[80:81], vcc_lo, v[64:65], v[56:57], v[64:65]
	s_delay_alu instid0(VALU_DEP_2) | instskip(SKIP_1) | instid1(TRANS32_DEP_1)
	v_rcp_f64_e32 v[68:69], v[66:67]
	v_nop
	v_fma_f64 v[78:79], -v[66:67], v[68:69], 1.0
	s_delay_alu instid0(VALU_DEP_1) | instskip(NEXT) | instid1(VALU_DEP_1)
	v_fmac_f64_e32 v[68:69], v[68:69], v[78:79]
	v_fma_f64 v[78:79], -v[66:67], v[68:69], 1.0
	s_delay_alu instid0(VALU_DEP_1) | instskip(NEXT) | instid1(VALU_DEP_1)
	v_fmac_f64_e32 v[68:69], v[68:69], v[78:79]
	v_mul_f64_e32 v[78:79], v[80:81], v[68:69]
	s_delay_alu instid0(VALU_DEP_1) | instskip(NEXT) | instid1(VALU_DEP_1)
	v_fma_f64 v[66:67], -v[66:67], v[78:79], v[80:81]
	v_div_fmas_f64 v[66:67], v[66:67], v[68:69], v[78:79]
	s_delay_alu instid0(VALU_DEP_1) | instskip(NEXT) | instid1(VALU_DEP_1)
	v_div_fixup_f64 v[64:65], v[66:67], v[56:57], v[64:65]
	v_fma_f64 v[64:65], v[64:65], v[64:65], 1.0
	s_delay_alu instid0(VALU_DEP_1) | instskip(SKIP_1) | instid1(VALU_DEP_1)
	v_cmp_gt_f64_e32 vcc_lo, 0x10000000, v[64:65]
	v_cndmask_b32_e64 v59, 0, 0x100, vcc_lo
	v_ldexp_f64 v[64:65], v[64:65], v59
	v_cndmask_b32_e64 v59, 0, 0xffffff80, vcc_lo
	s_delay_alu instid0(VALU_DEP_2) | instskip(SKIP_1) | instid1(TRANS32_DEP_1)
	v_rsq_f64_e32 v[66:67], v[64:65]
	v_cmp_class_f64_e64 vcc_lo, v[64:65], 0x260
	v_mul_f64_e32 v[68:69], v[64:65], v[66:67]
	v_mul_f64_e32 v[66:67], 0.5, v[66:67]
	s_delay_alu instid0(VALU_DEP_1) | instskip(NEXT) | instid1(VALU_DEP_1)
	v_fma_f64 v[78:79], -v[66:67], v[68:69], 0.5
	v_fmac_f64_e32 v[68:69], v[68:69], v[78:79]
	v_fmac_f64_e32 v[66:67], v[66:67], v[78:79]
	s_delay_alu instid0(VALU_DEP_2) | instskip(NEXT) | instid1(VALU_DEP_1)
	v_fma_f64 v[78:79], -v[68:69], v[68:69], v[64:65]
	v_fmac_f64_e32 v[68:69], v[78:79], v[66:67]
	s_delay_alu instid0(VALU_DEP_1) | instskip(NEXT) | instid1(VALU_DEP_1)
	v_fma_f64 v[78:79], -v[68:69], v[68:69], v[64:65]
	v_fmac_f64_e32 v[68:69], v[78:79], v[66:67]
	s_delay_alu instid0(VALU_DEP_1) | instskip(NEXT) | instid1(VALU_DEP_1)
	v_ldexp_f64 v[66:67], v[68:69], v59
	v_dual_cndmask_b32 v65, v67, v65 :: v_dual_cndmask_b32 v64, v66, v64
	s_delay_alu instid0(VALU_DEP_1)
	v_mul_f64_e32 v[66:67], v[56:57], v[64:65]
.LBB10_13:                              ;   in Loop: Header=BB10_4 Depth=1
	s_or_b32 exec_lo, exec_lo, s3
	s_delay_alu instid0(VALU_DEP_1) | instskip(NEXT) | instid1(VALU_DEP_1)
	v_add_f64_e64 v[56:57], v[66:67], -v[54:55]
	v_mul_f64_e32 v[56:57], 0.5, v[56:57]
	s_delay_alu instid0(VALU_DEP_1) | instskip(SKIP_1) | instid1(VALU_DEP_1)
	v_cmp_gt_f64_e32 vcc_lo, 0x10000000, v[56:57]
	v_cndmask_b32_e64 v59, 0, 0x100, vcc_lo
	v_ldexp_f64 v[56:57], v[56:57], v59
	v_add_f64_e32 v[54:55], v[54:55], v[66:67]
	s_delay_alu instid0(VALU_DEP_2) | instskip(NEXT) | instid1(VALU_DEP_1)
	v_rsq_f64_e32 v[64:65], v[56:57]
	v_mul_f64_e32 v[54:55], 0.5, v[54:55]
	s_delay_alu instid0(VALU_DEP_1) | instskip(NEXT) | instid1(VALU_DEP_1)
	v_cmp_gt_f64_e64 s3, 0x10000000, v[54:55]
	v_cndmask_b32_e64 v59, 0, 0x100, s3
	s_delay_alu instid0(VALU_DEP_1) | instskip(NEXT) | instid1(TRANS32_DEP_1)
	v_ldexp_f64 v[54:55], v[54:55], v59
	v_mul_f64_e32 v[68:69], v[56:57], v[64:65]
	v_mul_f64_e32 v[64:65], 0.5, v[64:65]
	v_cndmask_b32_e64 v59, 0, 0xffffff80, vcc_lo
	v_cmp_class_f64_e64 vcc_lo, v[56:57], 0x260
	v_rsq_f64_e32 v[66:67], v[54:55]
	s_delay_alu instid0(VALU_DEP_3) | instskip(NEXT) | instid1(VALU_DEP_1)
	v_fma_f64 v[80:81], -v[64:65], v[68:69], 0.5
	v_fmac_f64_e32 v[68:69], v[68:69], v[80:81]
	v_fmac_f64_e32 v[64:65], v[64:65], v[80:81]
	s_delay_alu instid0(VALU_DEP_2) | instskip(NEXT) | instid1(VALU_DEP_1)
	v_fma_f64 v[80:81], -v[68:69], v[68:69], v[56:57]
	v_fmac_f64_e32 v[68:69], v[80:81], v[64:65]
	s_delay_alu instid0(VALU_DEP_1) | instskip(NEXT) | instid1(VALU_DEP_1)
	v_fma_f64 v[80:81], -v[68:69], v[68:69], v[56:57]
	v_fmac_f64_e32 v[68:69], v[80:81], v[64:65]
	s_delay_alu instid0(VALU_DEP_1) | instskip(SKIP_2) | instid1(VALU_DEP_3)
	v_ldexp_f64 v[64:65], v[68:69], v59
	v_cndmask_b32_e64 v59, 0, 0xffffff80, s3
	v_cmp_class_f64_e64 s3, v[54:55], 0x260
	v_dual_cndmask_b32 v64, v64, v56, vcc_lo :: v_dual_cndmask_b32 v56, v65, v57, vcc_lo
	s_delay_alu instid0(VALU_DEP_1) | instskip(NEXT) | instid1(TRANS32_DEP_1)
	v_xor_b32_e32 v57, 0x80000000, v56
	v_mul_f64_e32 v[78:79], v[54:55], v[66:67]
	s_delay_alu instid0(VALU_DEP_2) | instskip(SKIP_1) | instid1(VALU_DEP_1)
	v_dual_mul_f64 v[66:67], 0.5, v[66:67] :: v_dual_cndmask_b32 v65, v56, v57, s2
	s_mov_b32 s2, exec_lo
                                        ; implicit-def: $vgpr56_vgpr57
	v_fma_f64 v[82:83], -v[66:67], v[78:79], 0.5
	s_delay_alu instid0(VALU_DEP_1) | instskip(SKIP_1) | instid1(VALU_DEP_2)
	v_fmac_f64_e32 v[78:79], v[78:79], v[82:83]
	v_fmac_f64_e32 v[66:67], v[66:67], v[82:83]
	v_fma_f64 v[82:83], -v[78:79], v[78:79], v[54:55]
	s_delay_alu instid0(VALU_DEP_1) | instskip(NEXT) | instid1(VALU_DEP_1)
	v_fmac_f64_e32 v[78:79], v[82:83], v[66:67]
	v_fma_f64 v[82:83], -v[78:79], v[78:79], v[54:55]
	s_delay_alu instid0(VALU_DEP_1) | instskip(NEXT) | instid1(VALU_DEP_1)
	v_fmac_f64_e32 v[78:79], v[82:83], v[66:67]
	v_ldexp_f64 v[66:67], v[78:79], v59
	s_delay_alu instid0(VALU_DEP_1)
	v_dual_cndmask_b32 v67, v67, v55, s3 :: v_dual_cndmask_b32 v66, v66, v54, s3
                                        ; implicit-def: $vgpr54_vgpr55
	v_cmpx_nlt_f64_e32 0, v[46:47]
	s_xor_b32 s2, exec_lo, s2
	s_cbranch_execz .LBB10_15
; %bb.14:                               ;   in Loop: Header=BB10_4 Depth=1
	s_delay_alu instid0(VALU_DEP_2)
	v_add_f64_e64 v[54:55], v[46:47], -v[66:67]
	v_add_f64_e64 v[56:57], v[48:49], -v[64:65]
                                        ; implicit-def: $vgpr66_vgpr67
                                        ; implicit-def: $vgpr64_vgpr65
.LBB10_15:                              ;   in Loop: Header=BB10_4 Depth=1
	s_and_not1_saveexec_b32 s2, s2
	s_cbranch_execz .LBB10_17
; %bb.16:                               ;   in Loop: Header=BB10_4 Depth=1
	v_add_f64_e32 v[54:55], v[46:47], v[66:67]
	v_add_f64_e32 v[56:57], v[48:49], v[64:65]
.LBB10_17:                              ;   in Loop: Header=BB10_4 Depth=1
	s_or_b32 exec_lo, exec_lo, s2
	s_delay_alu instid0(VALU_DEP_1) | instskip(NEXT) | instid1(VALU_DEP_3)
	v_dual_mul_f64 v[64:65], v[56:57], v[56:57] :: v_dual_ashrrev_i32 v59, 31, v58
	v_dual_mul_f64 v[66:67], v[54:55], v[56:57] :: v_dual_add_nc_u32 v77, s5, v74
	v_dual_mul_f64 v[78:79], v[56:57], -v[56:57] :: v_dual_ashrrev_i32 v63, 31, v62
	s_delay_alu instid0(VALU_DEP_3) | instskip(SKIP_2) | instid1(VALU_DEP_1)
	v_lshl_add_u64 v[100:101], v[58:59], 4, s[8:9]
	v_lshl_add_u64 v[58:59], v[58:59], 4, s[6:7]
	v_ashrrev_i32_e32 v61, 31, v60
	v_lshlrev_b64_e32 v[60:61], 4, v[60:61]
	v_fmac_f64_e32 v[64:65], v[54:55], v[54:55]
	v_fmac_f64_e32 v[66:67], v[56:57], v[54:55]
	;; [unrolled: 1-line block ×3, first 2 shown]
	s_delay_alu instid0(VALU_DEP_3) | instskip(NEXT) | instid1(VALU_DEP_3)
	v_div_scale_f64 v[68:69], null, v[64:65], v[64:65], 1.0
	v_add_f64_e32 v[82:83], v[52:53], v[66:67]
	s_delay_alu instid0(VALU_DEP_3) | instskip(NEXT) | instid1(VALU_DEP_3)
	v_add_f64_e32 v[84:85], v[50:51], v[78:79]
	v_rcp_f64_e32 v[80:81], v[68:69]
	s_delay_alu instid0(VALU_DEP_2) | instskip(NEXT) | instid1(VALU_DEP_1)
	v_mul_f64_e32 v[86:87], v[82:83], v[82:83]
	v_fmac_f64_e32 v[86:87], v[84:85], v[84:85]
	s_delay_alu instid0(TRANS32_DEP_1) | instskip(NEXT) | instid1(VALU_DEP_2)
	v_fma_f64 v[52:53], -v[68:69], v[80:81], 1.0
	v_div_scale_f64 v[88:89], null, v[86:87], v[86:87], 1.0
	s_delay_alu instid0(VALU_DEP_2) | instskip(SKIP_1) | instid1(VALU_DEP_3)
	v_fmac_f64_e32 v[80:81], v[80:81], v[52:53]
	v_div_scale_f64 v[52:53], vcc_lo, 1.0, v[64:65], 1.0
	v_rcp_f64_e32 v[90:91], v[88:89]
	s_delay_alu instid0(VALU_DEP_2) | instskip(NEXT) | instid1(VALU_DEP_1)
	v_fma_f64 v[50:51], -v[68:69], v[80:81], 1.0
	v_fmac_f64_e32 v[80:81], v[80:81], v[50:51]
	s_delay_alu instid0(TRANS32_DEP_1) | instskip(NEXT) | instid1(VALU_DEP_2)
	v_fma_f64 v[92:93], -v[88:89], v[90:91], 1.0
	v_mul_f64_e32 v[50:51], v[52:53], v[80:81]
	s_delay_alu instid0(VALU_DEP_2) | instskip(NEXT) | instid1(VALU_DEP_2)
	v_fmac_f64_e32 v[90:91], v[90:91], v[92:93]
	v_fma_f64 v[52:53], -v[68:69], v[50:51], v[52:53]
	v_mul_f64_e32 v[68:69], v[40:41], v[56:57]
	s_delay_alu instid0(VALU_DEP_2) | instskip(NEXT) | instid1(VALU_DEP_4)
	v_div_fmas_f64 v[50:51], v[52:53], v[80:81], v[50:51]
	v_fma_f64 v[80:81], -v[88:89], v[90:91], 1.0
	v_mul_f64_e64 v[52:53], v[56:57], -v[38:39]
	s_delay_alu instid0(VALU_DEP_4)
	v_fmac_f64_e32 v[68:69], v[38:39], v[54:55]
	v_div_scale_f64 v[92:93], vcc_lo, 1.0, v[86:87], 1.0
	v_div_fixup_f64 v[64:65], v[50:51], v[64:65], 1.0
	v_fmac_f64_e32 v[90:91], v[90:91], v[80:81]
	v_fmac_f64_e32 v[52:53], v[40:41], v[54:55]
	v_mul_f64_e32 v[80:81], v[44:45], v[56:57]
	v_mul_f64_e64 v[56:57], v[56:57], -v[42:43]
	v_mul_f64_e32 v[50:51], v[68:69], v[64:65]
	v_mul_f64_e32 v[68:69], 0x80000000, v[66:67]
	v_mul_f64_e32 v[94:95], v[92:93], v[90:91]
	v_mul_f64_e32 v[52:53], v[52:53], v[64:65]
	v_fmac_f64_e32 v[80:81], v[42:43], v[54:55]
	v_fmac_f64_e32 v[56:57], v[44:45], v[54:55]
	v_add_f64_e32 v[66:67], v[66:67], v[66:67]
	v_fmac_f64_e32 v[68:69], 2.0, v[78:79]
	v_fma_f64 v[88:89], -v[88:89], v[94:95], v[92:93]
	v_fma_f64 v[98:99], v[52:53], v[50:51], 0
	v_mul_f64_e32 v[54:55], v[80:81], v[64:65]
	v_mul_f64_e32 v[56:57], v[56:57], v[64:65]
	v_fma_f64 v[64:65], v[52:53], v[38:39], v[48:49]
	v_fma_f64 v[38:39], v[50:51], v[38:39], v[46:47]
	v_fma_f64 v[80:81], v[50:51], v[50:51], 1.0
	v_fmac_f64_e32 v[66:67], 0, v[78:79]
	v_mul_f64_e64 v[92:93], v[82:83], -v[68:69]
	v_div_fmas_f64 v[88:89], v[88:89], v[90:91], v[94:95]
	v_fmac_f64_e32 v[98:99], v[50:51], v[52:53]
	v_fmac_f64_e32 v[64:65], v[50:51], v[40:41]
	v_fma_f64 v[90:91], -v[52:53], v[40:41], v[38:39]
	v_fma_f64 v[94:95], -v[52:53], v[52:53], v[80:81]
	global_load_b128 v[78:81], v77, s[10:11] scale_offset
	global_load_b128 v[38:41], v[100:101], off
	v_mul_f64_e32 v[96:97], v[82:83], v[66:67]
	v_fmac_f64_e32 v[92:93], v[66:67], v[84:85]
	v_div_fixup_f64 v[66:67], v[88:89], v[86:87], 1.0
	v_lshlrev_b64_e32 v[86:87], 4, v[62:63]
	v_fmac_f64_e32 v[98:99], v[56:57], v[54:55]
	v_fmac_f64_e32 v[64:65], v[56:57], v[42:43]
	;; [unrolled: 1-line block ×4, first 2 shown]
	v_add_nc_u64_e32 v[102:103], s[14:15], v[86:87]
	v_fmac_f64_e32 v[96:97], v[68:69], v[84:85]
	v_add_nc_u64_e32 v[108:109], s[24:25], v[86:87]
	global_load_b128 v[82:85], v[102:103], off
	v_mul_f64_e32 v[68:69], v[66:67], v[92:93]
	v_fmac_f64_e32 v[98:99], v[54:55], v[56:57]
	v_fmac_f64_e32 v[64:65], v[54:55], v[44:45]
	v_fma_f64 v[42:43], -v[56:57], v[44:45], v[90:91]
	v_fma_f64 v[104:105], -v[56:57], v[56:57], v[94:95]
	v_mul_f64_e32 v[66:67], v[66:67], v[96:97]
	v_mul_f64_e32 v[106:107], v[98:99], v[98:99]
	v_mul_f64_e64 v[44:45], v[68:69], -v[64:65]
	v_mul_f64_e32 v[88:89], v[68:69], v[42:43]
	s_delay_alu instid0(VALU_DEP_3) | instskip(NEXT) | instid1(VALU_DEP_3)
	v_fmac_f64_e32 v[106:107], v[104:105], v[104:105]
	v_fmac_f64_e32 v[44:45], v[42:43], v[66:67]
	s_delay_alu instid0(VALU_DEP_3) | instskip(NEXT) | instid1(VALU_DEP_3)
	v_fmac_f64_e32 v[88:89], v[64:65], v[66:67]
	v_div_scale_f64 v[64:65], null, v[106:107], v[106:107], 1.0
	s_delay_alu instid0(VALU_DEP_3) | instskip(NEXT) | instid1(VALU_DEP_3)
	v_add_f64_e64 v[42:43], v[46:47], -v[44:45]
	v_add_f64_e64 v[44:45], v[48:49], -v[88:89]
	global_load_b128 v[86:89], v[108:109], off
	v_rcp_f64_e32 v[46:47], v[64:65]
	v_nop
	s_delay_alu instid0(TRANS32_DEP_1) | instskip(NEXT) | instid1(VALU_DEP_1)
	v_fma_f64 v[48:49], -v[64:65], v[46:47], 1.0
	v_fmac_f64_e32 v[46:47], v[46:47], v[48:49]
	v_lshl_add_u64 v[48:49], v[62:63], 4, s[12:13]
	global_store_b128 v[48:49], v[42:45], off
	s_clause 0x1
	global_load_b128 v[90:93], v77, s[8:9] scale_offset
	global_load_b128 v[94:97], v77, s[6:7] scale_offset
	s_wait_xcnt 0x2
	v_fma_f64 v[42:43], -v[64:65], v[46:47], 1.0
	s_wait_loadcnt 0x4
	v_fma_f64 v[110:111], v[52:53], v[38:39], v[80:81]
	v_fma_f64 v[38:39], v[50:51], v[38:39], v[78:79]
	s_delay_alu instid0(VALU_DEP_3) | instskip(SKIP_1) | instid1(VALU_DEP_4)
	v_fmac_f64_e32 v[46:47], v[46:47], v[42:43]
	v_div_scale_f64 v[42:43], vcc_lo, 1.0, v[106:107], 1.0
	v_fmac_f64_e32 v[110:111], v[50:51], v[40:41]
	s_delay_alu instid0(VALU_DEP_4) | instskip(NEXT) | instid1(VALU_DEP_3)
	v_fma_f64 v[62:63], -v[52:53], v[40:41], v[38:39]
	v_mul_f64_e32 v[38:39], v[42:43], v[46:47]
	s_wait_loadcnt 0x3
	v_fma_f64 v[44:45], v[52:53], v[34:35], v[84:85]
	s_delay_alu instid0(VALU_DEP_4) | instskip(NEXT) | instid1(VALU_DEP_4)
	v_fmac_f64_e32 v[110:111], v[56:57], v[6:7]
	v_fmac_f64_e32 v[62:63], v[54:55], v[6:7]
	s_delay_alu instid0(VALU_DEP_4)
	v_fma_f64 v[40:41], -v[64:65], v[38:39], v[42:43]
	v_fma_f64 v[42:43], v[50:51], v[34:35], v[82:83]
	v_fmac_f64_e32 v[44:45], v[50:51], v[36:37]
	v_fmac_f64_e32 v[110:111], v[54:55], v[8:9]
	v_fma_f64 v[114:115], -v[56:57], v[8:9], v[62:63]
	v_div_fmas_f64 v[112:113], v[40:41], v[46:47], v[38:39]
	v_fma_f64 v[42:43], -v[52:53], v[36:37], v[42:43]
	s_and_not1_b32 vcc_lo, exec_lo, s27
	v_fmac_f64_e32 v[44:45], v[56:57], v[14:15]
	v_mul_f64_e64 v[62:63], v[68:69], -v[110:111]
	s_delay_alu instid0(VALU_DEP_3) | instskip(NEXT) | instid1(VALU_DEP_3)
	v_fmac_f64_e32 v[42:43], v[54:55], v[14:15]
	v_fmac_f64_e32 v[44:45], v[54:55], v[16:17]
	s_wait_loadcnt 0x2
	v_fma_f64 v[46:47], v[52:53], v[30:31], v[88:89]
	s_delay_alu instid0(VALU_DEP_4) | instskip(NEXT) | instid1(VALU_DEP_4)
	v_fmac_f64_e32 v[62:63], v[114:115], v[66:67]
	v_fma_f64 v[42:43], -v[56:57], v[16:17], v[42:43]
	s_delay_alu instid0(VALU_DEP_4) | instskip(NEXT) | instid1(VALU_DEP_4)
	v_mul_f64_e64 v[38:39], v[68:69], -v[44:45]
	v_fmac_f64_e32 v[46:47], v[50:51], v[32:33]
	s_delay_alu instid0(VALU_DEP_4) | instskip(NEXT) | instid1(VALU_DEP_4)
	v_add_f64_e64 v[78:79], v[78:79], -v[62:63]
	v_mul_f64_e32 v[40:41], v[68:69], v[42:43]
	s_delay_alu instid0(VALU_DEP_4) | instskip(SKIP_2) | instid1(VALU_DEP_4)
	v_fmac_f64_e32 v[38:39], v[42:43], v[66:67]
	v_fma_f64 v[42:43], v[50:51], v[30:31], v[86:87]
	v_fmac_f64_e32 v[46:47], v[56:57], v[18:19]
	v_fmac_f64_e32 v[40:41], v[44:45], v[66:67]
	s_delay_alu instid0(VALU_DEP_4) | instskip(NEXT) | instid1(VALU_DEP_4)
	v_fma_f64 v[34:35], -v[38:39], v[50:51], v[34:35]
	v_fma_f64 v[42:43], -v[52:53], v[32:33], v[42:43]
	v_add_f64_e64 v[82:83], v[82:83], -v[38:39]
	v_fmac_f64_e32 v[46:47], v[54:55], v[20:21]
	v_fma_f64 v[36:37], -v[40:41], v[50:51], v[36:37]
	v_add_f64_e64 v[84:85], v[84:85], -v[40:41]
	s_wait_loadcnt 0x1
	v_fma_f64 v[64:65], v[52:53], v[26:27], v[92:93]
	v_fmac_f64_e32 v[34:35], v[40:41], v[52:53]
	v_fmac_f64_e32 v[42:43], v[54:55], v[18:19]
	v_fma_f64 v[36:37], -v[38:39], v[52:53], v[36:37]
	global_store_b128 v[102:103], v[82:85], off
	v_fmac_f64_e32 v[64:65], v[50:51], v[28:29]
	v_fma_f64 v[44:45], -v[56:57], v[20:21], v[42:43]
	v_mul_f64_e64 v[42:43], v[68:69], -v[46:47]
	s_delay_alu instid0(VALU_DEP_3) | instskip(NEXT) | instid1(VALU_DEP_2)
	v_fmac_f64_e32 v[64:65], v[56:57], v[10:11]
	v_fmac_f64_e32 v[42:43], v[44:45], v[66:67]
	v_mul_f64_e32 v[44:45], v[68:69], v[44:45]
	s_delay_alu instid0(VALU_DEP_3) | instskip(NEXT) | instid1(VALU_DEP_3)
	v_fmac_f64_e32 v[64:65], v[54:55], v[12:13]
	v_fma_f64 v[30:31], -v[42:43], v[50:51], v[30:31]
	s_delay_alu instid0(VALU_DEP_3) | instskip(SKIP_2) | instid1(VALU_DEP_3)
	v_fmac_f64_e32 v[44:45], v[46:47], v[66:67]
	v_fma_f64 v[46:47], v[50:51], v[26:27], v[90:91]
	v_add_f64_e64 v[86:87], v[86:87], -v[42:43]
	v_fma_f64 v[32:33], -v[44:45], v[50:51], v[32:33]
	s_delay_alu instid0(VALU_DEP_3) | instskip(SKIP_2) | instid1(VALU_DEP_4)
	v_fma_f64 v[46:47], -v[52:53], v[28:29], v[46:47]
	v_add_f64_e64 v[88:89], v[88:89], -v[44:45]
	v_fmac_f64_e32 v[30:31], v[44:45], v[52:53]
	v_fma_f64 v[32:33], -v[42:43], v[52:53], v[32:33]
	s_delay_alu instid0(VALU_DEP_4) | instskip(NEXT) | instid1(VALU_DEP_1)
	v_fmac_f64_e32 v[46:47], v[54:55], v[10:11]
	v_fma_f64 v[48:49], -v[56:57], v[12:13], v[46:47]
	v_mul_f64_e64 v[46:47], v[68:69], -v[64:65]
	s_delay_alu instid0(VALU_DEP_1) | instskip(SKIP_1) | instid1(VALU_DEP_2)
	v_fmac_f64_e32 v[46:47], v[48:49], v[66:67]
	v_mul_f64_e32 v[48:49], v[68:69], v[48:49]
	v_add_f64_e64 v[90:91], v[90:91], -v[46:47]
	s_delay_alu instid0(VALU_DEP_2)
	v_fmac_f64_e32 v[48:49], v[64:65], v[66:67]
	v_mul_f64_e32 v[64:65], v[68:69], v[114:115]
	v_mul_f64_e32 v[68:69], -2.0, v[98:99]
	v_mul_f64_e32 v[98:99], 0, v[98:99]
	v_fma_f64 v[26:27], -v[46:47], v[50:51], v[26:27]
	v_add_f64_e64 v[92:93], v[92:93], -v[48:49]
	v_fmac_f64_e32 v[64:65], v[110:111], v[66:67]
	v_div_fixup_f64 v[66:67], v[112:113], v[106:107], 1.0
	v_fmac_f64_e32 v[68:69], 0, v[104:105]
	v_fmac_f64_e32 v[98:99], 2.0, v[104:105]
	s_wait_loadcnt 0x0
	v_fma_f64 v[106:107], v[52:53], v[22:23], v[96:97]
	v_fma_f64 v[28:29], -v[48:49], v[50:51], v[28:29]
	v_fmac_f64_e32 v[26:27], v[48:49], v[52:53]
	global_store_b128 v77, v[90:93], s[8:9] scale_offset
	s_wait_xcnt 0x0
	v_add_nc_u64_e32 v[90:91], s[18:19], v[60:61]
	v_add_f64_e64 v[80:81], v[80:81], -v[64:65]
	v_mul_f64_e32 v[104:105], v[68:69], v[66:67]
	v_mul_f64_e32 v[98:99], v[98:99], v[66:67]
	v_fma_f64 v[66:67], v[50:51], v[22:23], v[94:95]
	v_fmac_f64_e32 v[106:107], v[50:51], v[24:25]
	v_fma_f64 v[28:29], -v[46:47], v[52:53], v[28:29]
	global_store_b128 v[90:91], v[50:53], off
	global_load_b128 v[90:93], v[100:101], off
	v_fma_f64 v[66:67], -v[52:53], v[24:25], v[66:67]
	v_fmac_f64_e32 v[106:107], v[56:57], v[2:3]
	s_delay_alu instid0(VALU_DEP_2) | instskip(NEXT) | instid1(VALU_DEP_2)
	v_fmac_f64_e32 v[66:67], v[54:55], v[2:3]
	v_fmac_f64_e32 v[106:107], v[54:55], v[4:5]
	s_delay_alu instid0(VALU_DEP_2) | instskip(NEXT) | instid1(VALU_DEP_2)
	v_fma_f64 v[110:111], -v[56:57], v[4:5], v[66:67]
	v_mul_f64_e64 v[68:69], v[104:105], -v[106:107]
	s_delay_alu instid0(VALU_DEP_2) | instskip(NEXT) | instid1(VALU_DEP_2)
	v_mul_f64_e32 v[66:67], v[104:105], v[110:111]
	v_fmac_f64_e32 v[68:69], v[110:111], v[98:99]
	s_delay_alu instid0(VALU_DEP_2) | instskip(NEXT) | instid1(VALU_DEP_2)
	v_fmac_f64_e32 v[66:67], v[106:107], v[98:99]
	v_fma_f64 v[24:25], -v[52:53], v[68:69], v[24:25]
	v_fma_f64 v[22:23], -v[50:51], v[68:69], v[22:23]
	v_add_f64_e64 v[94:95], v[94:95], -v[68:69]
	s_delay_alu instid0(VALU_DEP_4) | instskip(NEXT) | instid1(VALU_DEP_4)
	v_add_f64_e64 v[96:97], v[96:97], -v[66:67]
	v_fma_f64 v[24:25], -v[50:51], v[66:67], v[24:25]
	s_delay_alu instid0(VALU_DEP_4) | instskip(SKIP_4) | instid1(VALU_DEP_3)
	v_fmac_f64_e32 v[22:23], v[52:53], v[66:67]
	s_wait_loadcnt 0x0
	v_fma_f64 v[92:93], -v[64:65], v[50:51], v[92:93]
	v_fma_f64 v[90:91], -v[62:63], v[50:51], v[90:91]
	v_add_nc_u64_e32 v[50:51], s[12:13], v[60:61]
	v_fma_f64 v[92:93], -v[62:63], v[52:53], v[92:93]
	s_delay_alu instid0(VALU_DEP_3)
	v_fmac_f64_e32 v[90:91], v[64:65], v[52:53]
	v_add_nc_u64_e32 v[52:53], s[14:15], v[60:61]
	v_add_nc_u64_e32 v[60:61], s[24:25], v[60:61]
	global_store_b128 v[108:109], v[86:89], off
	global_store_b128 v77, v[78:81], s[10:11] scale_offset
	global_store_b128 v[50:51], v[34:37], off
	global_store_b128 v[52:53], v[30:33], off
	;; [unrolled: 1-line block ×3, first 2 shown]
	global_store_b128 v77, v[94:97], s[6:7] scale_offset
	global_store_b128 v[100:101], v[90:93], off
	global_store_b128 v[58:59], v[22:25], off
	s_cbranch_vccnz .LBB10_3
; %bb.18:                               ;   in Loop: Header=BB10_4 Depth=1
	v_fma_f64 v[14:15], -v[38:39], v[54:55], v[14:15]
	v_fma_f64 v[16:17], -v[40:41], v[54:55], v[16:17]
	;; [unrolled: 1-line block ×10, first 2 shown]
	v_fmac_f64_e32 v[14:15], v[40:41], v[56:57]
	v_fma_f64 v[16:17], -v[38:39], v[56:57], v[16:17]
	v_fmac_f64_e32 v[10:11], v[48:49], v[56:57]
	v_fma_f64 v[12:13], -v[46:47], v[56:57], v[12:13]
	v_fmac_f64_e32 v[18:19], v[44:45], v[56:57]
	v_fma_f64 v[20:21], -v[42:43], v[56:57], v[20:21]
	v_fmac_f64_e32 v[6:7], v[64:65], v[56:57]
	v_fma_f64 v[8:9], -v[62:63], v[56:57], v[8:9]
	v_fmac_f64_e32 v[2:3], v[56:57], v[66:67]
	v_fma_f64 v[4:5], -v[54:55], v[66:67], v[4:5]
	s_clause 0x4
	global_store_b128 v76, v[14:17], s[18:19] scale_offset
	global_store_b128 v76, v[54:57], s[16:17] scale_offset
	;; [unrolled: 1-line block ×6, first 2 shown]
	s_branch .LBB10_3
.LBB10_19:
	s_cmp_lt_i32 s20, 1
	s_cbranch_scc1 .LBB10_32
; %bb.20:
	s_wait_xcnt 0x0
	s_load_b64 s[0:1], s[0:1], 0x38
	s_add_co_i32 s2, s20, 3
	s_add_co_i32 s3, s20, 1
	s_wait_loadcnt 0x1
	v_mad_u32 v7, s22, s2, v0
	s_add_co_i32 s2, s20, 2
	v_mad_u32 v6, s21, s23, v0
	v_mad_u32 v8, s22, s2, v0
	;; [unrolled: 1-line block ×5, first 2 shown]
	s_mov_b32 s2, s20
	s_branch .LBB10_22
.LBB10_21:                              ;   in Loop: Header=BB10_22 Depth=1
	s_wait_kmcnt 0x0
	global_load_b128 v[14:17], v12, s[12:13] scale_offset
	v_lshl_add_u64 v[4:5], v[4:5], 4, s[6:7]
	v_subrev_nc_u32_e32 v6, s21, v6
	v_subrev_nc_u32_e32 v7, s22, v7
	;; [unrolled: 1-line block ×4, first 2 shown]
	global_load_b128 v[18:21], v[4:5], off
	v_subrev_nc_u32_e32 v10, s22, v10
	v_subrev_nc_u32_e32 v11, s22, v11
	s_add_co_i32 s2, s2, -1
	s_delay_alu instid0(SALU_CYCLE_1)
	s_cmp_gt_i32 s2, 0
	s_wait_loadcnt 0x1
	s_wait_xcnt 0x0
	v_mul_f64_e32 v[4:5], v[16:17], v[16:17]
	s_wait_loadcnt 0x0
	v_add_f64_e64 v[0:1], v[20:21], -v[0:1]
	v_add_f64_e64 v[2:3], v[18:19], -v[2:3]
	s_delay_alu instid0(VALU_DEP_3) | instskip(NEXT) | instid1(VALU_DEP_3)
	v_fmac_f64_e32 v[4:5], v[14:15], v[14:15]
	v_mul_f64_e32 v[18:19], v[0:1], v[16:17]
	s_delay_alu instid0(VALU_DEP_3) | instskip(NEXT) | instid1(VALU_DEP_3)
	v_mul_f64_e64 v[16:17], v[16:17], -v[2:3]
	v_div_scale_f64 v[22:23], null, v[4:5], v[4:5], 1.0
	v_div_scale_f64 v[28:29], vcc_lo, 1.0, v[4:5], 1.0
	s_delay_alu instid0(VALU_DEP_4) | instskip(NEXT) | instid1(VALU_DEP_4)
	v_fmac_f64_e32 v[18:19], v[2:3], v[14:15]
	v_fmac_f64_e32 v[16:17], v[0:1], v[14:15]
	s_delay_alu instid0(VALU_DEP_4) | instskip(SKIP_1) | instid1(TRANS32_DEP_1)
	v_rcp_f64_e32 v[24:25], v[22:23]
	v_nop
	v_fma_f64 v[26:27], -v[22:23], v[24:25], 1.0
	s_delay_alu instid0(VALU_DEP_1) | instskip(NEXT) | instid1(VALU_DEP_1)
	v_fmac_f64_e32 v[24:25], v[24:25], v[26:27]
	v_fma_f64 v[26:27], -v[22:23], v[24:25], 1.0
	s_delay_alu instid0(VALU_DEP_1) | instskip(NEXT) | instid1(VALU_DEP_1)
	v_fmac_f64_e32 v[24:25], v[24:25], v[26:27]
	v_mul_f64_e32 v[26:27], v[28:29], v[24:25]
	s_delay_alu instid0(VALU_DEP_1) | instskip(NEXT) | instid1(VALU_DEP_1)
	v_fma_f64 v[20:21], -v[22:23], v[26:27], v[28:29]
	v_div_fmas_f64 v[20:21], v[20:21], v[24:25], v[26:27]
	s_delay_alu instid0(VALU_DEP_1) | instskip(NEXT) | instid1(VALU_DEP_1)
	v_div_fixup_f64 v[2:3], v[20:21], v[4:5], 1.0
	v_mul_f64_e32 v[0:1], v[18:19], v[2:3]
	v_mul_f64_e32 v[2:3], v[16:17], v[2:3]
	global_store_b128 v12, v[0:3], s[0:1] scale_offset
	s_cbranch_scc0 .LBB10_32
.LBB10_22:                              ; =>This Inner Loop Header: Depth=1
	s_wait_xcnt 0x0
	v_mov_b64_e32 v[0:1], 0
	s_wait_loadcnt 0x0
	v_mov_b64_e32 v[2:3], 0
	s_delay_alu instid0(VALU_DEP_3)
	v_add_nc_u32_e32 v12, s5, v11
	s_cmp_ge_i32 s2, s20
	s_cbranch_scc1 .LBB10_24
; %bb.23:                               ;   in Loop: Header=BB10_22 Depth=1
	v_add_nc_u32_e32 v4, s5, v10
	s_wait_kmcnt 0x0
	global_load_b128 v[0:3], v12, s[14:15] scale_offset
	global_load_b128 v[14:17], v4, s[0:1] scale_offset
	s_wait_loadcnt 0x0
	v_mul_f64_e64 v[4:5], v[16:17], -v[2:3]
	v_mul_f64_e32 v[16:17], v[16:17], v[0:1]
	s_delay_alu instid0(VALU_DEP_2) | instskip(NEXT) | instid1(VALU_DEP_2)
	v_fmac_f64_e32 v[4:5], v[0:1], v[14:15]
	v_fmac_f64_e32 v[16:17], v[2:3], v[14:15]
	s_delay_alu instid0(VALU_DEP_2) | instskip(NEXT) | instid1(VALU_DEP_2)
	v_add_f64_e32 v[2:3], 0, v[4:5]
	v_add_f64_e32 v[0:1], 0, v[16:17]
.LBB10_24:                              ;   in Loop: Header=BB10_22 Depth=1
	s_add_co_i32 s3, s2, 1
	s_delay_alu instid0(SALU_CYCLE_1)
	s_cmp_ge_i32 s3, s20
	s_cbranch_scc1 .LBB10_26
; %bb.25:                               ;   in Loop: Header=BB10_22 Depth=1
	v_add_nc_u32_e32 v4, s5, v9
	s_wait_kmcnt 0x0
	global_load_b128 v[14:17], v12, s[24:25] scale_offset
	global_load_b128 v[18:21], v4, s[0:1] scale_offset
	s_wait_loadcnt 0x0
	v_mul_f64_e64 v[4:5], v[20:21], -v[16:17]
	v_mul_f64_e32 v[20:21], v[20:21], v[14:15]
	s_delay_alu instid0(VALU_DEP_2) | instskip(NEXT) | instid1(VALU_DEP_2)
	v_fmac_f64_e32 v[4:5], v[14:15], v[18:19]
	v_fmac_f64_e32 v[20:21], v[16:17], v[18:19]
	s_delay_alu instid0(VALU_DEP_2) | instskip(NEXT) | instid1(VALU_DEP_2)
	v_add_f64_e32 v[2:3], v[2:3], v[4:5]
	v_add_f64_e32 v[0:1], v[0:1], v[20:21]
.LBB10_26:                              ;   in Loop: Header=BB10_22 Depth=1
	v_add_nc_u32_e32 v4, s5, v6
	s_add_co_i32 s3, s2, 2
	s_delay_alu instid0(SALU_CYCLE_1)
	s_cmp_lt_i32 s3, s20
	s_mov_b32 s3, -1
	s_cbranch_scc0 .LBB10_29
; %bb.27:                               ;   in Loop: Header=BB10_22 Depth=1
	s_and_not1_b32 vcc_lo, exec_lo, s3
	s_cbranch_vccz .LBB10_30
.LBB10_28:                              ;   in Loop: Header=BB10_22 Depth=1
	s_add_co_i32 s3, s2, 3
	s_delay_alu instid0(SALU_CYCLE_1)
	s_cmp_ge_i32 s3, s20
	s_cbranch_scc1 .LBB10_21
	s_branch .LBB10_31
.LBB10_29:                              ;   in Loop: Header=BB10_22 Depth=1
	v_ashrrev_i32_e32 v5, 31, v4
	s_cbranch_execnz .LBB10_28
.LBB10_30:                              ;   in Loop: Header=BB10_22 Depth=1
	v_add_nc_u32_e32 v5, s5, v8
	s_wait_kmcnt 0x0
	global_load_b128 v[14:17], v4, s[8:9] scale_offset
	global_load_b128 v[18:21], v5, s[0:1] scale_offset
	s_wait_xcnt 0x0
	v_ashrrev_i32_e32 v5, 31, v4
	s_wait_loadcnt 0x0
	v_mul_f64_e64 v[22:23], v[20:21], -v[16:17]
	v_mul_f64_e32 v[20:21], v[20:21], v[14:15]
	s_delay_alu instid0(VALU_DEP_2) | instskip(NEXT) | instid1(VALU_DEP_2)
	v_fmac_f64_e32 v[22:23], v[14:15], v[18:19]
	v_fmac_f64_e32 v[20:21], v[16:17], v[18:19]
	s_delay_alu instid0(VALU_DEP_2) | instskip(NEXT) | instid1(VALU_DEP_2)
	v_add_f64_e32 v[2:3], v[2:3], v[22:23]
	v_add_f64_e32 v[0:1], v[0:1], v[20:21]
	s_add_co_i32 s3, s2, 3
	s_delay_alu instid0(SALU_CYCLE_1)
	s_cmp_ge_i32 s3, s20
	s_cbranch_scc1 .LBB10_21
.LBB10_31:                              ;   in Loop: Header=BB10_22 Depth=1
	v_add_nc_u32_e32 v13, s5, v7
	s_wait_kmcnt 0x0
	v_lshl_add_u64 v[22:23], v[4:5], 4, s[10:11]
	global_load_b128 v[14:17], v13, s[0:1] scale_offset
	global_load_b128 v[18:21], v[22:23], off
	s_wait_loadcnt 0x0
	v_mul_f64_e64 v[22:23], v[16:17], -v[20:21]
	v_mul_f64_e32 v[16:17], v[16:17], v[18:19]
	s_delay_alu instid0(VALU_DEP_2) | instskip(NEXT) | instid1(VALU_DEP_2)
	v_fmac_f64_e32 v[22:23], v[18:19], v[14:15]
	v_fmac_f64_e32 v[16:17], v[20:21], v[14:15]
	s_delay_alu instid0(VALU_DEP_2) | instskip(NEXT) | instid1(VALU_DEP_2)
	v_add_f64_e32 v[2:3], v[2:3], v[22:23]
	v_add_f64_e32 v[0:1], v[0:1], v[16:17]
	s_branch .LBB10_21
.LBB10_32:
	s_sendmsg sendmsg(MSG_DEALLOC_VGPRS)
	s_endpgm
	.section	.rodata,"a",@progbits
	.p2align	6, 0x0
	.amdhsa_kernel _ZN9rocsparseL44gpsv_interleaved_batch_householder_qr_kernelILj256E21rocsparse_complex_numIdEEEviiiPT0_S4_S4_S4_S4_S4_S4_S4_S4_
		.amdhsa_group_segment_fixed_size 0
		.amdhsa_private_segment_fixed_size 0
		.amdhsa_kernarg_size 344
		.amdhsa_user_sgpr_count 2
		.amdhsa_user_sgpr_dispatch_ptr 0
		.amdhsa_user_sgpr_queue_ptr 0
		.amdhsa_user_sgpr_kernarg_segment_ptr 1
		.amdhsa_user_sgpr_dispatch_id 0
		.amdhsa_user_sgpr_kernarg_preload_length 0
		.amdhsa_user_sgpr_kernarg_preload_offset 0
		.amdhsa_user_sgpr_private_segment_size 0
		.amdhsa_wavefront_size32 1
		.amdhsa_uses_dynamic_stack 0
		.amdhsa_enable_private_segment 0
		.amdhsa_system_sgpr_workgroup_id_x 1
		.amdhsa_system_sgpr_workgroup_id_y 0
		.amdhsa_system_sgpr_workgroup_id_z 0
		.amdhsa_system_sgpr_workgroup_info 0
		.amdhsa_system_vgpr_workitem_id 0
		.amdhsa_next_free_vgpr 116
		.amdhsa_next_free_sgpr 29
		.amdhsa_named_barrier_count 0
		.amdhsa_reserve_vcc 1
		.amdhsa_float_round_mode_32 0
		.amdhsa_float_round_mode_16_64 0
		.amdhsa_float_denorm_mode_32 3
		.amdhsa_float_denorm_mode_16_64 3
		.amdhsa_fp16_overflow 0
		.amdhsa_memory_ordered 1
		.amdhsa_forward_progress 1
		.amdhsa_inst_pref_size 34
		.amdhsa_round_robin_scheduling 0
		.amdhsa_exception_fp_ieee_invalid_op 0
		.amdhsa_exception_fp_denorm_src 0
		.amdhsa_exception_fp_ieee_div_zero 0
		.amdhsa_exception_fp_ieee_overflow 0
		.amdhsa_exception_fp_ieee_underflow 0
		.amdhsa_exception_fp_ieee_inexact 0
		.amdhsa_exception_int_div_zero 0
	.end_amdhsa_kernel
	.section	.text._ZN9rocsparseL44gpsv_interleaved_batch_householder_qr_kernelILj256E21rocsparse_complex_numIdEEEviiiPT0_S4_S4_S4_S4_S4_S4_S4_S4_,"axG",@progbits,_ZN9rocsparseL44gpsv_interleaved_batch_householder_qr_kernelILj256E21rocsparse_complex_numIdEEEviiiPT0_S4_S4_S4_S4_S4_S4_S4_S4_,comdat
.Lfunc_end10:
	.size	_ZN9rocsparseL44gpsv_interleaved_batch_householder_qr_kernelILj256E21rocsparse_complex_numIdEEEviiiPT0_S4_S4_S4_S4_S4_S4_S4_S4_, .Lfunc_end10-_ZN9rocsparseL44gpsv_interleaved_batch_householder_qr_kernelILj256E21rocsparse_complex_numIdEEEviiiPT0_S4_S4_S4_S4_S4_S4_S4_S4_
                                        ; -- End function
	.set _ZN9rocsparseL44gpsv_interleaved_batch_householder_qr_kernelILj256E21rocsparse_complex_numIdEEEviiiPT0_S4_S4_S4_S4_S4_S4_S4_S4_.num_vgpr, 116
	.set _ZN9rocsparseL44gpsv_interleaved_batch_householder_qr_kernelILj256E21rocsparse_complex_numIdEEEviiiPT0_S4_S4_S4_S4_S4_S4_S4_S4_.num_agpr, 0
	.set _ZN9rocsparseL44gpsv_interleaved_batch_householder_qr_kernelILj256E21rocsparse_complex_numIdEEEviiiPT0_S4_S4_S4_S4_S4_S4_S4_S4_.numbered_sgpr, 29
	.set _ZN9rocsparseL44gpsv_interleaved_batch_householder_qr_kernelILj256E21rocsparse_complex_numIdEEEviiiPT0_S4_S4_S4_S4_S4_S4_S4_S4_.num_named_barrier, 0
	.set _ZN9rocsparseL44gpsv_interleaved_batch_householder_qr_kernelILj256E21rocsparse_complex_numIdEEEviiiPT0_S4_S4_S4_S4_S4_S4_S4_S4_.private_seg_size, 0
	.set _ZN9rocsparseL44gpsv_interleaved_batch_householder_qr_kernelILj256E21rocsparse_complex_numIdEEEviiiPT0_S4_S4_S4_S4_S4_S4_S4_S4_.uses_vcc, 1
	.set _ZN9rocsparseL44gpsv_interleaved_batch_householder_qr_kernelILj256E21rocsparse_complex_numIdEEEviiiPT0_S4_S4_S4_S4_S4_S4_S4_S4_.uses_flat_scratch, 0
	.set _ZN9rocsparseL44gpsv_interleaved_batch_householder_qr_kernelILj256E21rocsparse_complex_numIdEEEviiiPT0_S4_S4_S4_S4_S4_S4_S4_S4_.has_dyn_sized_stack, 0
	.set _ZN9rocsparseL44gpsv_interleaved_batch_householder_qr_kernelILj256E21rocsparse_complex_numIdEEEviiiPT0_S4_S4_S4_S4_S4_S4_S4_S4_.has_recursion, 0
	.set _ZN9rocsparseL44gpsv_interleaved_batch_householder_qr_kernelILj256E21rocsparse_complex_numIdEEEviiiPT0_S4_S4_S4_S4_S4_S4_S4_S4_.has_indirect_call, 0
	.section	.AMDGPU.csdata,"",@progbits
; Kernel info:
; codeLenInByte = 4280
; TotalNumSgprs: 31
; NumVgprs: 116
; ScratchSize: 0
; MemoryBound: 1
; FloatMode: 240
; IeeeMode: 1
; LDSByteSize: 0 bytes/workgroup (compile time only)
; SGPRBlocks: 0
; VGPRBlocks: 7
; NumSGPRsForWavesPerEU: 31
; NumVGPRsForWavesPerEU: 116
; NamedBarCnt: 0
; Occupancy: 8
; WaveLimiterHint : 0
; COMPUTE_PGM_RSRC2:SCRATCH_EN: 0
; COMPUTE_PGM_RSRC2:USER_SGPR: 2
; COMPUTE_PGM_RSRC2:TRAP_HANDLER: 0
; COMPUTE_PGM_RSRC2:TGID_X_EN: 1
; COMPUTE_PGM_RSRC2:TGID_Y_EN: 0
; COMPUTE_PGM_RSRC2:TGID_Z_EN: 0
; COMPUTE_PGM_RSRC2:TIDIG_COMP_CNT: 0
	.section	.text._ZN9rocsparseL39gpsv_interleaved_batch_givens_qr_kernelILj128E21rocsparse_complex_numIdEEEviiiPT0_S4_S4_S4_S4_S4_S4_S4_,"axG",@progbits,_ZN9rocsparseL39gpsv_interleaved_batch_givens_qr_kernelILj128E21rocsparse_complex_numIdEEEviiiPT0_S4_S4_S4_S4_S4_S4_S4_,comdat
	.globl	_ZN9rocsparseL39gpsv_interleaved_batch_givens_qr_kernelILj128E21rocsparse_complex_numIdEEEviiiPT0_S4_S4_S4_S4_S4_S4_S4_ ; -- Begin function _ZN9rocsparseL39gpsv_interleaved_batch_givens_qr_kernelILj128E21rocsparse_complex_numIdEEEviiiPT0_S4_S4_S4_S4_S4_S4_S4_
	.p2align	8
	.type	_ZN9rocsparseL39gpsv_interleaved_batch_givens_qr_kernelILj128E21rocsparse_complex_numIdEEEviiiPT0_S4_S4_S4_S4_S4_S4_S4_,@function
_ZN9rocsparseL39gpsv_interleaved_batch_givens_qr_kernelILj128E21rocsparse_complex_numIdEEEviiiPT0_S4_S4_S4_S4_S4_S4_S4_: ; @_ZN9rocsparseL39gpsv_interleaved_batch_givens_qr_kernelILj128E21rocsparse_complex_numIdEEEviiiPT0_S4_S4_S4_S4_S4_S4_S4_
; %bb.0:
	s_load_b96 s[16:18], s[0:1], 0x0
	s_bfe_u32 s2, ttmp6, 0x4000c
	s_and_b32 s3, ttmp6, 15
	s_add_co_i32 s2, s2, 1
	s_getreg_b32 s4, hwreg(HW_REG_IB_STS2, 6, 4)
	s_mul_i32 s2, ttmp9, s2
	s_delay_alu instid0(SALU_CYCLE_1) | instskip(SKIP_2) | instid1(SALU_CYCLE_1)
	s_add_co_i32 s3, s3, s2
	s_cmp_eq_u32 s4, 0
	s_cselect_b32 s2, ttmp9, s3
	s_lshl_b32 s19, s2, 7
	s_mov_b32 s2, exec_lo
	v_or_b32_e32 v1, s19, v0
	s_wait_kmcnt 0x0
	s_delay_alu instid0(VALU_DEP_1)
	v_cmpx_gt_i32_e64 s17, v1
	s_cbranch_execz .LBB11_25
; %bb.1:
	s_clause 0x2
	s_load_b64 s[2:3], s[0:1], 0x48
	s_load_b128 s[12:15], s[0:1], 0x38
	s_load_b256 s[4:11], s[0:1], 0x18
	s_add_co_i32 s20, s16, -2
	s_cmp_lt_i32 s16, 3
	s_cbranch_scc1 .LBB11_16
; %bb.2:
	s_wait_xcnt 0x0
	s_load_b64 s[0:1], s[0:1], 0x10
	v_dual_mov_b32 v48, v1 :: v_dual_mov_b32 v50, v1
	s_lshl_b32 s21, s18, 1
	s_mov_b32 s22, s20
	s_branch .LBB11_4
.LBB11_3:                               ;   in Loop: Header=BB11_4 Depth=1
	s_or_b32 exec_lo, exec_lo, s23
	s_delay_alu instid0(VALU_DEP_1) | instskip(SKIP_1) | instid1(SALU_CYCLE_1)
	v_cmp_gt_f64_e32 vcc_lo, 0x10000000, v[68:69]
	s_add_co_i32 s22, s22, -1
	s_cmp_eq_u32 s22, 0
	v_cndmask_b32_e64 v41, 0, 0x100, vcc_lo
	s_delay_alu instid0(VALU_DEP_1) | instskip(SKIP_1) | instid1(VALU_DEP_2)
	v_ldexp_f64 v[64:65], v[68:69], v41
	v_cndmask_b32_e64 v41, 0, 0xffffff80, vcc_lo
	v_rsq_f64_e32 v[66:67], v[64:65]
	v_cmp_class_f64_e64 vcc_lo, v[64:65], 0x260
	s_delay_alu instid0(TRANS32_DEP_1) | instskip(SKIP_1) | instid1(VALU_DEP_1)
	v_mul_f64_e32 v[68:69], v[64:65], v[66:67]
	v_mul_f64_e32 v[66:67], 0.5, v[66:67]
	v_fma_f64 v[70:71], -v[66:67], v[68:69], 0.5
	s_delay_alu instid0(VALU_DEP_1) | instskip(SKIP_1) | instid1(VALU_DEP_2)
	v_fmac_f64_e32 v[68:69], v[68:69], v[70:71]
	v_fmac_f64_e32 v[66:67], v[66:67], v[70:71]
	v_fma_f64 v[72:73], -v[68:69], v[68:69], v[64:65]
	s_delay_alu instid0(VALU_DEP_1) | instskip(NEXT) | instid1(VALU_DEP_1)
	v_fmac_f64_e32 v[68:69], v[72:73], v[66:67]
	v_fma_f64 v[70:71], -v[68:69], v[68:69], v[64:65]
	s_delay_alu instid0(VALU_DEP_1) | instskip(NEXT) | instid1(VALU_DEP_1)
	v_fmac_f64_e32 v[68:69], v[70:71], v[66:67]
	v_ldexp_f64 v[66:67], v[68:69], v41
	s_delay_alu instid0(VALU_DEP_1) | instskip(NEXT) | instid1(VALU_DEP_1)
	v_dual_cndmask_b32 v65, v67, v65 :: v_dual_cndmask_b32 v64, v66, v64
	v_fma_f64 v[66:67], v[64:65], v[64:65], 0
	s_delay_alu instid0(VALU_DEP_1) | instskip(NEXT) | instid1(VALU_DEP_1)
	v_div_scale_f64 v[68:69], null, v[66:67], v[66:67], 1.0
	v_rcp_f64_e32 v[70:71], v[68:69]
	v_nop
	s_delay_alu instid0(TRANS32_DEP_1) | instskip(NEXT) | instid1(VALU_DEP_1)
	v_fma_f64 v[72:73], -v[68:69], v[70:71], 1.0
	v_fmac_f64_e32 v[70:71], v[70:71], v[72:73]
	s_delay_alu instid0(VALU_DEP_1) | instskip(NEXT) | instid1(VALU_DEP_1)
	v_fma_f64 v[72:73], -v[68:69], v[70:71], 1.0
	v_fmac_f64_e32 v[70:71], v[70:71], v[72:73]
	v_div_scale_f64 v[72:73], vcc_lo, 1.0, v[66:67], 1.0
	s_delay_alu instid0(VALU_DEP_1) | instskip(NEXT) | instid1(VALU_DEP_1)
	v_mul_f64_e32 v[74:75], v[72:73], v[70:71]
	v_fma_f64 v[68:69], -v[68:69], v[74:75], v[72:73]
	v_mul_f64_e32 v[72:73], 0x80000000, v[32:33]
	s_delay_alu instid0(VALU_DEP_2) | instskip(SKIP_2) | instid1(VALU_DEP_4)
	v_div_fmas_f64 v[68:69], v[68:69], v[70:71], v[74:75]
	v_mul_f64_e32 v[70:71], 0x80000000, v[34:35]
	v_mul_f64_e32 v[74:75], 0x80000000, v[30:31]
	v_fmac_f64_e32 v[72:73], v[30:31], v[64:65]
	s_delay_alu instid0(VALU_DEP_4) | instskip(SKIP_2) | instid1(VALU_DEP_3)
	v_div_fixup_f64 v[66:67], v[68:69], v[66:67], 1.0
	v_mul_f64_e32 v[68:69], 0x80000000, v[36:37]
	v_fma_f64 v[70:71], -v[36:37], v[64:65], v[70:71]
	v_mul_f64_e32 v[72:73], v[72:73], v[66:67]
	s_delay_alu instid0(VALU_DEP_3) | instskip(SKIP_1) | instid1(VALU_DEP_4)
	v_fmac_f64_e32 v[68:69], v[34:35], v[64:65]
	v_fma_f64 v[64:65], -v[32:33], v[64:65], v[74:75]
	v_mul_f64_e32 v[70:71], v[70:71], v[66:67]
	s_delay_alu instid0(VALU_DEP_3) | instskip(NEXT) | instid1(VALU_DEP_3)
	v_mul_f64_e32 v[68:69], v[68:69], v[66:67]
	v_mul_f64_e32 v[74:75], v[64:65], v[66:67]
	s_delay_alu instid0(VALU_DEP_1) | instskip(SKIP_1) | instid1(VALU_DEP_2)
	v_mul_f64_e64 v[64:65], v[74:75], -v[32:33]
	v_mul_f64_e32 v[66:67], v[30:31], v[74:75]
	v_fmac_f64_e32 v[64:65], v[30:31], v[72:73]
	s_delay_alu instid0(VALU_DEP_2) | instskip(SKIP_2) | instid1(VALU_DEP_4)
	v_fmac_f64_e32 v[66:67], v[32:33], v[72:73]
	v_mul_f64_e32 v[30:31], v[16:17], v[70:71]
	v_mul_f64_e64 v[32:33], v[14:15], -v[70:71]
	v_fmac_f64_e32 v[64:65], v[34:35], v[68:69]
	s_delay_alu instid0(VALU_DEP_4) | instskip(NEXT) | instid1(VALU_DEP_4)
	v_fmac_f64_e32 v[66:67], v[36:37], v[68:69]
	v_fmac_f64_e32 v[30:31], v[14:15], v[68:69]
	s_delay_alu instid0(VALU_DEP_4) | instskip(NEXT) | instid1(VALU_DEP_4)
	v_fmac_f64_e32 v[32:33], v[16:17], v[68:69]
	v_fma_f64 v[64:65], -v[36:37], v[70:71], v[64:65]
	s_delay_alu instid0(VALU_DEP_4) | instskip(SKIP_1) | instid1(VALU_DEP_4)
	v_fmac_f64_e32 v[66:67], v[34:35], v[70:71]
	s_wait_loadcnt 0x1
	v_fma_f64 v[30:31], -v[26:27], v[72:73], v[30:31]
	s_delay_alu instid0(VALU_DEP_4)
	v_fma_f64 v[32:33], -v[28:29], v[72:73], v[32:33]
	global_store_b128 v[62:63], v[64:67], off
	v_fma_f64 v[30:31], v[28:29], -v[74:75], v[30:31]
	v_fmac_f64_e32 v[32:33], v[26:27], v[74:75]
	global_store_b128 v[56:57], v[30:33], off
	s_wait_xcnt 0x0
	v_mul_f64_e64 v[30:31], v[74:75], -v[16:17]
	v_mul_f64_e32 v[32:33], v[14:15], v[74:75]
	s_delay_alu instid0(VALU_DEP_2) | instskip(NEXT) | instid1(VALU_DEP_2)
	v_fmac_f64_e32 v[30:31], v[14:15], v[72:73]
	v_fmac_f64_e32 v[32:33], v[16:17], v[72:73]
	v_mul_f64_e32 v[14:15], v[4:5], v[70:71]
	v_mul_f64_e64 v[16:17], v[2:3], -v[70:71]
	s_delay_alu instid0(VALU_DEP_4) | instskip(NEXT) | instid1(VALU_DEP_4)
	v_fmac_f64_e32 v[30:31], v[26:27], v[68:69]
	v_fmac_f64_e32 v[32:33], v[28:29], v[68:69]
	s_delay_alu instid0(VALU_DEP_4) | instskip(NEXT) | instid1(VALU_DEP_4)
	v_fmac_f64_e32 v[14:15], v[2:3], v[68:69]
	v_fmac_f64_e32 v[16:17], v[4:5], v[68:69]
	s_delay_alu instid0(VALU_DEP_4) | instskip(NEXT) | instid1(VALU_DEP_4)
	v_fma_f64 v[30:31], -v[28:29], v[70:71], v[30:31]
	v_fmac_f64_e32 v[32:33], v[26:27], v[70:71]
	s_wait_loadcnt 0x0
	s_delay_alu instid0(VALU_DEP_4) | instskip(NEXT) | instid1(VALU_DEP_4)
	v_fma_f64 v[14:15], -v[22:23], v[72:73], v[14:15]
	v_fma_f64 v[16:17], -v[24:25], v[72:73], v[16:17]
	global_store_b128 v[60:61], v[30:33], off
	v_fma_f64 v[14:15], v[24:25], -v[74:75], v[14:15]
	v_fmac_f64_e32 v[16:17], v[22:23], v[74:75]
	global_store_b128 v[54:55], v[14:17], off
	s_wait_xcnt 0x0
	v_mul_f64_e64 v[14:15], v[74:75], -v[4:5]
	v_mul_f64_e32 v[16:17], v[2:3], v[74:75]
	s_delay_alu instid0(VALU_DEP_2) | instskip(NEXT) | instid1(VALU_DEP_2)
	v_fmac_f64_e32 v[14:15], v[2:3], v[72:73]
	v_fmac_f64_e32 v[16:17], v[4:5], v[72:73]
	v_mul_f64_e32 v[2:3], v[12:13], v[70:71]
	v_mul_f64_e64 v[4:5], v[10:11], -v[70:71]
	s_delay_alu instid0(VALU_DEP_4) | instskip(NEXT) | instid1(VALU_DEP_4)
	v_fmac_f64_e32 v[14:15], v[22:23], v[68:69]
	v_fmac_f64_e32 v[16:17], v[24:25], v[68:69]
	s_delay_alu instid0(VALU_DEP_4) | instskip(NEXT) | instid1(VALU_DEP_4)
	v_fmac_f64_e32 v[2:3], v[10:11], v[68:69]
	v_fmac_f64_e32 v[4:5], v[12:13], v[68:69]
	s_delay_alu instid0(VALU_DEP_4) | instskip(NEXT) | instid1(VALU_DEP_4)
	v_fma_f64 v[14:15], -v[24:25], v[70:71], v[14:15]
	v_fmac_f64_e32 v[16:17], v[22:23], v[70:71]
	s_delay_alu instid0(VALU_DEP_4) | instskip(NEXT) | instid1(VALU_DEP_4)
	v_fma_f64 v[2:3], -v[18:19], v[72:73], v[2:3]
	v_fma_f64 v[4:5], -v[20:21], v[72:73], v[4:5]
	global_store_b128 v[58:59], v[14:17], off
	v_fma_f64 v[2:3], v[20:21], -v[74:75], v[2:3]
	v_fmac_f64_e32 v[4:5], v[18:19], v[74:75]
	s_wait_xcnt 0x0
	v_lshl_add_u64 v[14:15], v[48:49], 4, s[2:3]
	v_mov_b32_e32 v48, v46
	global_store_b128 v[52:53], v[2:5], off
	s_wait_xcnt 0x0
	v_mul_f64_e64 v[2:3], v[74:75], -v[12:13]
	v_mul_f64_e32 v[4:5], v[10:11], v[74:75]
	s_delay_alu instid0(VALU_DEP_2) | instskip(NEXT) | instid1(VALU_DEP_2)
	v_fmac_f64_e32 v[2:3], v[10:11], v[72:73]
	v_fmac_f64_e32 v[4:5], v[12:13], v[72:73]
	s_delay_alu instid0(VALU_DEP_2) | instskip(NEXT) | instid1(VALU_DEP_2)
	v_fmac_f64_e32 v[2:3], v[18:19], v[68:69]
	v_fmac_f64_e32 v[4:5], v[20:21], v[68:69]
	s_delay_alu instid0(VALU_DEP_2) | instskip(NEXT) | instid1(VALU_DEP_2)
	v_fma_f64 v[2:3], -v[20:21], v[70:71], v[2:3]
	v_fmac_f64_e32 v[4:5], v[18:19], v[70:71]
	global_store_b128 v[44:45], v[2:5], off
	s_wait_xcnt 0x0
	v_mul_f64_e32 v[2:3], v[8:9], v[70:71]
	v_mul_f64_e64 v[4:5], v[6:7], -v[70:71]
	s_delay_alu instid0(VALU_DEP_2) | instskip(NEXT) | instid1(VALU_DEP_2)
	v_fmac_f64_e32 v[2:3], v[6:7], v[68:69]
	v_fmac_f64_e32 v[4:5], v[8:9], v[68:69]
	global_store_b128 v[42:43], v[2:5], off
	s_wait_xcnt 0x0
	v_mul_f64_e64 v[2:3], v[74:75], -v[8:9]
	v_mul_f64_e32 v[4:5], v[6:7], v[74:75]
	s_delay_alu instid0(VALU_DEP_2) | instskip(NEXT) | instid1(VALU_DEP_2)
	v_fmac_f64_e32 v[2:3], v[6:7], v[72:73]
	v_fmac_f64_e32 v[4:5], v[8:9], v[72:73]
	v_lshl_add_u64 v[6:7], v[50:51], 4, s[14:15]
	v_mov_b32_e32 v50, v40
	global_store_b128 v[6:7], v[2:5], off
	s_clause 0x1
	global_load_b128 v[2:5], v[14:15], off
	global_load_b128 v[6:9], v[38:39], off
	s_wait_loadcnt 0x0
	v_mul_f64_e64 v[10:11], v[74:75], -v[8:9]
	v_mul_f64_e32 v[12:13], v[74:75], v[6:7]
	s_delay_alu instid0(VALU_DEP_2) | instskip(NEXT) | instid1(VALU_DEP_2)
	v_fmac_f64_e32 v[10:11], v[6:7], v[72:73]
	v_fmac_f64_e32 v[12:13], v[8:9], v[72:73]
	s_delay_alu instid0(VALU_DEP_2) | instskip(NEXT) | instid1(VALU_DEP_2)
	v_fmac_f64_e32 v[10:11], v[2:3], v[68:69]
	v_fmac_f64_e32 v[12:13], v[4:5], v[68:69]
	s_delay_alu instid0(VALU_DEP_2) | instskip(NEXT) | instid1(VALU_DEP_2)
	v_fma_f64 v[10:11], -v[4:5], v[70:71], v[10:11]
	v_fmac_f64_e32 v[12:13], v[2:3], v[70:71]
	global_store_b128 v[14:15], v[10:13], off
	s_wait_xcnt 0x0
	v_mul_f64_e32 v[10:11], v[70:71], v[8:9]
	v_mul_f64_e64 v[12:13], v[6:7], -v[70:71]
	s_delay_alu instid0(VALU_DEP_2) | instskip(NEXT) | instid1(VALU_DEP_2)
	v_fmac_f64_e32 v[10:11], v[6:7], v[68:69]
	v_fmac_f64_e32 v[12:13], v[8:9], v[68:69]
	s_delay_alu instid0(VALU_DEP_2) | instskip(NEXT) | instid1(VALU_DEP_2)
	v_fma_f64 v[6:7], -v[2:3], v[72:73], v[10:11]
	v_fma_f64 v[8:9], -v[4:5], v[72:73], v[12:13]
	s_delay_alu instid0(VALU_DEP_2) | instskip(NEXT) | instid1(VALU_DEP_2)
	v_fma_f64 v[6:7], v[4:5], -v[74:75], v[6:7]
	v_fmac_f64_e32 v[8:9], v[2:3], v[74:75]
	global_store_b128 v[38:39], v[6:9], off
	s_cbranch_scc1 .LBB11_16
.LBB11_4:                               ; =>This Inner Loop Header: Depth=1
	s_delay_alu instid0(VALU_DEP_1)
	v_dual_add_nc_u32 v30, s21, v48 :: v_dual_add_nc_u32 v46, s18, v48
	s_mov_b32 s23, exec_lo
                                        ; implicit-def: $vgpr66_vgpr67
	s_wait_kmcnt 0x0
	global_load_b128 v[38:41], v30, s[0:1] scale_offset
	s_clause 0x1
	global_load_b128 v[26:29], v46, s[4:5] scale_offset
	global_load_b128 v[6:9], v30, s[4:5] scale_offset
	s_clause 0x5
	global_load_b128 v[18:21], v46, s[6:7] scale_offset
	global_load_b128 v[14:17], v30, s[6:7] scale_offset
	;; [unrolled: 1-line block ×6, first 2 shown]
	s_wait_loadcnt 0x8
	v_mul_f64_e64 v[4:5], v[38:39], -v[40:41]
	v_mul_f64_e32 v[2:3], v[40:41], v[40:41]
	s_delay_alu instid0(VALU_DEP_2) | instskip(NEXT) | instid1(VALU_DEP_2)
	v_fmac_f64_e32 v[4:5], v[40:41], v[38:39]
	v_fmac_f64_e32 v[2:3], v[38:39], v[38:39]
	s_wait_loadcnt 0x7
	s_delay_alu instid0(VALU_DEP_2) | instskip(NEXT) | instid1(VALU_DEP_2)
	v_fmac_f64_e32 v[4:5], v[28:29], v[26:27]
	v_fmac_f64_e32 v[2:3], v[26:27], v[26:27]
	s_delay_alu instid0(VALU_DEP_2) | instskip(NEXT) | instid1(VALU_DEP_2)
	v_fma_f64 v[32:33], v[26:27], -v[28:29], v[4:5]
	v_fmac_f64_e32 v[2:3], v[28:29], v[28:29]
	s_delay_alu instid0(VALU_DEP_2) | instskip(SKIP_1) | instid1(VALU_DEP_1)
	v_cmp_gt_f64_e32 vcc_lo, 0, v[32:33]
	v_xor_b32_e32 v4, 0x80000000, v33
	v_dual_cndmask_b32 v5, v33, v4 :: v_dual_mov_b32 v4, v32
	s_wait_xcnt 0x0
	s_delay_alu instid0(VALU_DEP_1)
	v_cmpx_ngt_f64_e32 v[2:3], v[4:5]
	s_xor_b32 s23, exec_lo, s23
	s_cbranch_execz .LBB11_8
; %bb.5:                                ;   in Loop: Header=BB11_4 Depth=1
	v_mov_b64_e32 v[66:67], 0
	s_mov_b32 s24, exec_lo
	v_cmpx_neq_f64_e32 0, v[32:33]
	s_cbranch_execz .LBB11_7
; %bb.6:                                ;   in Loop: Header=BB11_4 Depth=1
	v_div_scale_f64 v[32:33], null, v[4:5], v[4:5], v[2:3]
	v_div_scale_f64 v[56:57], vcc_lo, v[2:3], v[4:5], v[2:3]
	s_delay_alu instid0(VALU_DEP_2) | instskip(SKIP_1) | instid1(TRANS32_DEP_1)
	v_rcp_f64_e32 v[52:53], v[32:33]
	v_nop
	v_fma_f64 v[54:55], -v[32:33], v[52:53], 1.0
	s_delay_alu instid0(VALU_DEP_1) | instskip(NEXT) | instid1(VALU_DEP_1)
	v_fmac_f64_e32 v[52:53], v[52:53], v[54:55]
	v_fma_f64 v[54:55], -v[32:33], v[52:53], 1.0
	s_delay_alu instid0(VALU_DEP_1) | instskip(NEXT) | instid1(VALU_DEP_1)
	v_fmac_f64_e32 v[52:53], v[52:53], v[54:55]
	v_mul_f64_e32 v[54:55], v[56:57], v[52:53]
	s_delay_alu instid0(VALU_DEP_1) | instskip(NEXT) | instid1(VALU_DEP_1)
	v_fma_f64 v[32:33], -v[32:33], v[54:55], v[56:57]
	v_div_fmas_f64 v[32:33], v[32:33], v[52:53], v[54:55]
	s_delay_alu instid0(VALU_DEP_1) | instskip(NEXT) | instid1(VALU_DEP_1)
	v_div_fixup_f64 v[2:3], v[32:33], v[4:5], v[2:3]
	v_fma_f64 v[2:3], v[2:3], v[2:3], 1.0
	s_delay_alu instid0(VALU_DEP_1) | instskip(SKIP_1) | instid1(VALU_DEP_1)
	v_cmp_gt_f64_e32 vcc_lo, 0x10000000, v[2:3]
	v_cndmask_b32_e64 v31, 0, 0x100, vcc_lo
	v_ldexp_f64 v[2:3], v[2:3], v31
	v_cndmask_b32_e64 v31, 0, 0xffffff80, vcc_lo
	s_delay_alu instid0(VALU_DEP_2) | instskip(SKIP_1) | instid1(TRANS32_DEP_1)
	v_rsq_f64_e32 v[32:33], v[2:3]
	v_cmp_class_f64_e64 vcc_lo, v[2:3], 0x260
	v_mul_f64_e32 v[52:53], v[2:3], v[32:33]
	v_mul_f64_e32 v[32:33], 0.5, v[32:33]
	s_delay_alu instid0(VALU_DEP_1) | instskip(NEXT) | instid1(VALU_DEP_1)
	v_fma_f64 v[54:55], -v[32:33], v[52:53], 0.5
	v_fmac_f64_e32 v[52:53], v[52:53], v[54:55]
	v_fmac_f64_e32 v[32:33], v[32:33], v[54:55]
	s_delay_alu instid0(VALU_DEP_2) | instskip(NEXT) | instid1(VALU_DEP_1)
	v_fma_f64 v[54:55], -v[52:53], v[52:53], v[2:3]
	v_fmac_f64_e32 v[52:53], v[54:55], v[32:33]
	s_delay_alu instid0(VALU_DEP_1) | instskip(NEXT) | instid1(VALU_DEP_1)
	v_fma_f64 v[54:55], -v[52:53], v[52:53], v[2:3]
	v_fmac_f64_e32 v[52:53], v[54:55], v[32:33]
	s_delay_alu instid0(VALU_DEP_1) | instskip(NEXT) | instid1(VALU_DEP_1)
	v_ldexp_f64 v[32:33], v[52:53], v31
	v_dual_cndmask_b32 v3, v33, v3 :: v_dual_cndmask_b32 v2, v32, v2
	s_delay_alu instid0(VALU_DEP_1)
	v_mul_f64_e32 v[66:67], v[4:5], v[2:3]
.LBB11_7:                               ;   in Loop: Header=BB11_4 Depth=1
	s_or_b32 exec_lo, exec_lo, s24
                                        ; implicit-def: $vgpr2_vgpr3
                                        ; implicit-def: $vgpr4_vgpr5
.LBB11_8:                               ;   in Loop: Header=BB11_4 Depth=1
	s_or_saveexec_b32 s23, s23
	v_ashrrev_i32_e32 v47, 31, v46
	v_ashrrev_i32_e32 v31, 31, v30
	s_delay_alu instid0(VALU_DEP_2) | instskip(NEXT) | instid1(VALU_DEP_2)
	v_lshlrev_b64_e32 v[52:53], 4, v[46:47]
	v_lshlrev_b64_e32 v[62:63], 4, v[30:31]
	s_delay_alu instid0(VALU_DEP_2) | instskip(NEXT) | instid1(VALU_DEP_2)
	v_add_nc_u64_e32 v[58:59], s[4:5], v[52:53]
	v_add_nc_u64_e32 v[60:61], s[4:5], v[62:63]
	;; [unrolled: 1-line block ×8, first 2 shown]
	s_xor_b32 exec_lo, exec_lo, s23
	s_cbranch_execz .LBB11_10
; %bb.9:                                ;   in Loop: Header=BB11_4 Depth=1
	v_div_scale_f64 v[66:67], null, v[2:3], v[2:3], v[4:5]
	v_div_scale_f64 v[72:73], vcc_lo, v[4:5], v[2:3], v[4:5]
	s_delay_alu instid0(VALU_DEP_2) | instskip(SKIP_1) | instid1(TRANS32_DEP_1)
	v_rcp_f64_e32 v[68:69], v[66:67]
	v_nop
	v_fma_f64 v[70:71], -v[66:67], v[68:69], 1.0
	s_delay_alu instid0(VALU_DEP_1) | instskip(NEXT) | instid1(VALU_DEP_1)
	v_fmac_f64_e32 v[68:69], v[68:69], v[70:71]
	v_fma_f64 v[70:71], -v[66:67], v[68:69], 1.0
	s_delay_alu instid0(VALU_DEP_1) | instskip(NEXT) | instid1(VALU_DEP_1)
	v_fmac_f64_e32 v[68:69], v[68:69], v[70:71]
	v_mul_f64_e32 v[70:71], v[72:73], v[68:69]
	s_delay_alu instid0(VALU_DEP_1) | instskip(NEXT) | instid1(VALU_DEP_1)
	v_fma_f64 v[66:67], -v[66:67], v[70:71], v[72:73]
	v_div_fmas_f64 v[66:67], v[66:67], v[68:69], v[70:71]
	s_delay_alu instid0(VALU_DEP_1) | instskip(NEXT) | instid1(VALU_DEP_1)
	v_div_fixup_f64 v[4:5], v[66:67], v[2:3], v[4:5]
	v_fma_f64 v[4:5], v[4:5], v[4:5], 1.0
	s_delay_alu instid0(VALU_DEP_1) | instskip(SKIP_1) | instid1(VALU_DEP_1)
	v_cmp_gt_f64_e32 vcc_lo, 0x10000000, v[4:5]
	v_cndmask_b32_e64 v49, 0, 0x100, vcc_lo
	v_ldexp_f64 v[4:5], v[4:5], v49
	v_cndmask_b32_e64 v49, 0, 0xffffff80, vcc_lo
	s_delay_alu instid0(VALU_DEP_2) | instskip(SKIP_1) | instid1(TRANS32_DEP_1)
	v_rsq_f64_e32 v[66:67], v[4:5]
	v_cmp_class_f64_e64 vcc_lo, v[4:5], 0x260
	v_mul_f64_e32 v[68:69], v[4:5], v[66:67]
	v_mul_f64_e32 v[66:67], 0.5, v[66:67]
	s_delay_alu instid0(VALU_DEP_1) | instskip(NEXT) | instid1(VALU_DEP_1)
	v_fma_f64 v[70:71], -v[66:67], v[68:69], 0.5
	v_fmac_f64_e32 v[68:69], v[68:69], v[70:71]
	v_fmac_f64_e32 v[66:67], v[66:67], v[70:71]
	s_delay_alu instid0(VALU_DEP_2) | instskip(NEXT) | instid1(VALU_DEP_1)
	v_fma_f64 v[70:71], -v[68:69], v[68:69], v[4:5]
	v_fmac_f64_e32 v[68:69], v[70:71], v[66:67]
	s_delay_alu instid0(VALU_DEP_1) | instskip(NEXT) | instid1(VALU_DEP_1)
	v_fma_f64 v[70:71], -v[68:69], v[68:69], v[4:5]
	v_fmac_f64_e32 v[68:69], v[70:71], v[66:67]
	s_delay_alu instid0(VALU_DEP_1) | instskip(NEXT) | instid1(VALU_DEP_1)
	v_ldexp_f64 v[66:67], v[68:69], v49
	v_dual_cndmask_b32 v5, v67, v5 :: v_dual_cndmask_b32 v4, v66, v4
	s_delay_alu instid0(VALU_DEP_1)
	v_mul_f64_e32 v[66:67], v[2:3], v[4:5]
.LBB11_10:                              ;   in Loop: Header=BB11_4 Depth=1
	s_or_b32 exec_lo, exec_lo, s23
	s_delay_alu instid0(VALU_DEP_1) | instskip(SKIP_4) | instid1(VALU_DEP_1)
	v_cmp_gt_f64_e32 vcc_lo, 0x10000000, v[66:67]
	v_mul_f64_e32 v[74:75], 0x80000000, v[40:41]
	v_lshl_add_u64 v[84:85], v[30:31], 4, s[2:3]
	s_mov_b32 s23, exec_lo
	v_cndmask_b32_e64 v2, 0, 0x100, vcc_lo
	v_ldexp_f64 v[2:3], v[66:67], v2
	s_delay_alu instid0(VALU_DEP_1) | instskip(SKIP_1) | instid1(TRANS32_DEP_1)
	v_rsq_f64_e32 v[4:5], v[2:3]
	v_nop
	v_mul_f64_e32 v[66:67], v[2:3], v[4:5]
	v_mul_f64_e32 v[4:5], 0.5, v[4:5]
	s_delay_alu instid0(VALU_DEP_1) | instskip(NEXT) | instid1(VALU_DEP_1)
	v_fma_f64 v[68:69], -v[4:5], v[66:67], 0.5
	v_fmac_f64_e32 v[66:67], v[66:67], v[68:69]
	v_fmac_f64_e32 v[4:5], v[4:5], v[68:69]
	s_delay_alu instid0(VALU_DEP_2) | instskip(NEXT) | instid1(VALU_DEP_1)
	v_fma_f64 v[68:69], -v[66:67], v[66:67], v[2:3]
	v_fmac_f64_e32 v[66:67], v[68:69], v[4:5]
	s_delay_alu instid0(VALU_DEP_1) | instskip(NEXT) | instid1(VALU_DEP_1)
	v_fma_f64 v[68:69], -v[66:67], v[66:67], v[2:3]
	v_fmac_f64_e32 v[66:67], v[68:69], v[4:5]
	v_cndmask_b32_e64 v4, 0, 0xffffff80, vcc_lo
	v_cmp_class_f64_e64 vcc_lo, v[2:3], 0x260
	s_delay_alu instid0(VALU_DEP_2) | instskip(NEXT) | instid1(VALU_DEP_1)
	v_ldexp_f64 v[4:5], v[66:67], v4
	v_dual_cndmask_b32 v3, v5, v3 :: v_dual_cndmask_b32 v2, v4, v2
	s_delay_alu instid0(VALU_DEP_1) | instskip(NEXT) | instid1(VALU_DEP_1)
	v_fma_f64 v[4:5], v[2:3], v[2:3], 0
	v_div_scale_f64 v[66:67], null, v[4:5], v[4:5], 1.0
	v_div_scale_f64 v[72:73], vcc_lo, 1.0, v[4:5], 1.0
	s_delay_alu instid0(VALU_DEP_2) | instskip(SKIP_1) | instid1(TRANS32_DEP_1)
	v_rcp_f64_e32 v[68:69], v[66:67]
	v_nop
	v_fma_f64 v[70:71], -v[66:67], v[68:69], 1.0
	s_delay_alu instid0(VALU_DEP_1) | instskip(NEXT) | instid1(VALU_DEP_1)
	v_fmac_f64_e32 v[68:69], v[68:69], v[70:71]
	v_fma_f64 v[70:71], -v[66:67], v[68:69], 1.0
	s_delay_alu instid0(VALU_DEP_1) | instskip(NEXT) | instid1(VALU_DEP_1)
	v_fmac_f64_e32 v[68:69], v[68:69], v[70:71]
	v_mul_f64_e32 v[70:71], v[72:73], v[68:69]
	s_delay_alu instid0(VALU_DEP_1) | instskip(SKIP_1) | instid1(VALU_DEP_2)
	v_fma_f64 v[66:67], -v[66:67], v[70:71], v[72:73]
	v_mul_f64_e32 v[72:73], 0x80000000, v[38:39]
	v_div_fmas_f64 v[66:67], v[66:67], v[68:69], v[70:71]
	v_mul_f64_e32 v[68:69], 0x80000000, v[26:27]
	v_mul_f64_e32 v[70:71], 0x80000000, v[28:29]
	s_delay_alu instid0(VALU_DEP_3) | instskip(NEXT) | instid1(VALU_DEP_3)
	v_div_fixup_f64 v[4:5], v[66:67], v[4:5], 1.0
	v_fma_f64 v[66:67], -v[28:29], v[2:3], v[68:69]
	s_delay_alu instid0(VALU_DEP_1) | instskip(SKIP_4) | instid1(VALU_DEP_4)
	v_mul_f64_e32 v[76:77], v[66:67], v[4:5]
	v_fma_f64 v[72:73], -v[40:41], v[2:3], v[72:73]
	v_fmac_f64_e32 v[70:71], v[26:27], v[2:3]
	v_fmac_f64_e32 v[74:75], v[38:39], v[2:3]
	s_wait_loadcnt 0x4
	v_mul_f64_e32 v[66:67], v[16:17], v[76:77]
	s_delay_alu instid0(VALU_DEP_4) | instskip(NEXT) | instid1(VALU_DEP_4)
	v_mul_f64_e32 v[80:81], v[72:73], v[4:5]
	v_mul_f64_e32 v[78:79], v[70:71], v[4:5]
	s_delay_alu instid0(VALU_DEP_4) | instskip(NEXT) | instid1(VALU_DEP_3)
	v_mul_f64_e32 v[82:83], v[74:75], v[4:5]
	v_mul_f64_e64 v[2:3], v[80:81], -v[16:17]
	v_mul_f64_e32 v[4:5], v[14:15], v[80:81]
	s_delay_alu instid0(VALU_DEP_4) | instskip(NEXT) | instid1(VALU_DEP_3)
	v_fmac_f64_e32 v[66:67], v[14:15], v[78:79]
	v_fmac_f64_e32 v[2:3], v[14:15], v[82:83]
	v_mul_f64_e64 v[14:15], v[14:15], -v[76:77]
	s_delay_alu instid0(VALU_DEP_4) | instskip(SKIP_1) | instid1(VALU_DEP_3)
	v_fmac_f64_e32 v[4:5], v[16:17], v[82:83]
	s_wait_loadcnt 0x2
	v_fmac_f64_e32 v[2:3], v[10:11], v[78:79]
	s_delay_alu instid0(VALU_DEP_3) | instskip(SKIP_1) | instid1(VALU_DEP_4)
	v_fmac_f64_e32 v[14:15], v[16:17], v[78:79]
	v_fma_f64 v[16:17], -v[10:11], v[82:83], v[66:67]
	v_fmac_f64_e32 v[4:5], v[12:13], v[78:79]
	s_delay_alu instid0(VALU_DEP_4) | instskip(NEXT) | instid1(VALU_DEP_4)
	v_fma_f64 v[2:3], -v[12:13], v[76:77], v[2:3]
	v_fma_f64 v[68:69], -v[12:13], v[82:83], v[14:15]
	v_mul_f64_e32 v[14:15], v[44:45], v[76:77]
	v_fma_f64 v[66:67], v[12:13], -v[80:81], v[16:17]
	v_mul_f64_e64 v[16:17], v[80:81], -v[8:9]
	v_fmac_f64_e32 v[4:5], v[10:11], v[76:77]
	v_fmac_f64_e32 v[68:69], v[10:11], v[80:81]
	v_mul_f64_e64 v[10:11], v[42:43], -v[76:77]
	v_fmac_f64_e32 v[14:15], v[42:43], v[78:79]
	v_fmac_f64_e32 v[16:17], v[6:7], v[82:83]
	s_delay_alu instid0(VALU_DEP_3) | instskip(SKIP_1) | instid1(VALU_DEP_3)
	v_fmac_f64_e32 v[10:11], v[44:45], v[78:79]
	s_wait_loadcnt 0x1
	v_fma_f64 v[14:15], -v[22:23], v[82:83], v[14:15]
	s_delay_alu instid0(VALU_DEP_3) | instskip(NEXT) | instid1(VALU_DEP_3)
	v_fmac_f64_e32 v[16:17], v[18:19], v[78:79]
	v_fma_f64 v[12:13], -v[24:25], v[82:83], v[10:11]
	s_delay_alu instid0(VALU_DEP_3) | instskip(NEXT) | instid1(VALU_DEP_3)
	v_fma_f64 v[10:11], v[24:25], -v[80:81], v[14:15]
	v_fma_f64 v[14:15], -v[20:21], v[76:77], v[16:17]
	v_mul_f64_e32 v[16:17], v[6:7], v[80:81]
	s_delay_alu instid0(VALU_DEP_4) | instskip(NEXT) | instid1(VALU_DEP_2)
	v_fmac_f64_e32 v[12:13], v[22:23], v[80:81]
	v_fmac_f64_e32 v[16:17], v[8:9], v[82:83]
	s_delay_alu instid0(VALU_DEP_1) | instskip(NEXT) | instid1(VALU_DEP_1)
	v_fmac_f64_e32 v[16:17], v[20:21], v[78:79]
	v_fmac_f64_e32 v[16:17], v[18:19], v[76:77]
	s_clause 0x1
	global_store_b128 v[56:57], v[14:17], off
	global_store_b128 v[32:33], v[66:69], off
	s_wait_xcnt 0x0
	v_mul_f64_e64 v[66:67], v[80:81], -v[40:41]
	v_mul_f64_e32 v[32:33], v[38:39], v[80:81]
	s_clause 0x1
	global_store_b128 v[54:55], v[2:5], off
	global_store_b128 v[64:65], v[10:13], off
	s_wait_xcnt 0x0
	v_mul_f64_e64 v[10:11], v[80:81], -v[44:45]
	v_mul_f64_e32 v[12:13], v[42:43], v[80:81]
	v_fmac_f64_e32 v[66:67], v[38:39], v[82:83]
	v_fmac_f64_e32 v[32:33], v[40:41], v[82:83]
	v_mul_f64_e32 v[38:39], v[8:9], v[76:77]
	v_mul_f64_e64 v[40:41], v[6:7], -v[76:77]
	v_fmac_f64_e32 v[10:11], v[42:43], v[82:83]
	v_fmac_f64_e32 v[12:13], v[44:45], v[82:83]
	s_wait_loadcnt 0x0
	v_mul_f64_e32 v[42:43], v[36:37], v[76:77]
	v_mul_f64_e64 v[44:45], v[34:35], -v[76:77]
	v_fmac_f64_e32 v[66:67], v[26:27], v[78:79]
	v_fmac_f64_e32 v[32:33], v[28:29], v[78:79]
	;; [unrolled: 1-line block ×4, first 2 shown]
	v_mul_f64_e64 v[6:7], v[80:81], -v[36:37]
	v_mul_f64_e32 v[8:9], v[34:35], v[80:81]
	v_fmac_f64_e32 v[42:43], v[34:35], v[78:79]
	v_fmac_f64_e32 v[44:45], v[36:37], v[78:79]
	;; [unrolled: 1-line block ×4, first 2 shown]
	v_fma_f64 v[30:31], -v[28:29], v[76:77], v[66:67]
	v_fmac_f64_e32 v[32:33], v[26:27], v[76:77]
	v_fma_f64 v[26:27], -v[18:19], v[82:83], v[38:39]
	v_lshl_add_u64 v[38:39], v[46:47], 4, s[2:3]
	v_fmac_f64_e32 v[6:7], v[34:35], v[82:83]
	v_fmac_f64_e32 v[8:9], v[36:37], v[82:83]
	global_load_b128 v[34:37], v[84:85], off
	v_fma_f64 v[74:75], -v[20:21], v[82:83], v[40:41]
	global_load_b128 v[64:67], v[38:39], off
	v_fma_f64 v[10:11], -v[24:25], v[76:77], v[10:11]
	v_fmac_f64_e32 v[12:13], v[22:23], v[76:77]
	v_dual_fma_f64 v[72:73], v[20:21], -v[80:81], v[26:27] :: v_dual_add_nc_u32 v40, s17, v50
	global_store_b128 v40, v[6:9], s[12:13] scale_offset
	v_fmac_f64_e32 v[74:75], v[18:19], v[80:81]
	global_load_b128 v[18:21], v50, s[12:13] scale_offset
	s_wait_loadcnt 0x2
	v_mul_f64_e64 v[68:69], v[80:81], -v[36:37]
	v_mul_f64_e32 v[70:71], v[80:81], v[34:35]
	v_mul_f64_e32 v[86:87], v[76:77], v[36:37]
	v_mul_f64_e64 v[88:89], v[34:35], -v[76:77]
	s_delay_alu instid0(VALU_DEP_4) | instskip(NEXT) | instid1(VALU_DEP_4)
	v_fmac_f64_e32 v[68:69], v[34:35], v[82:83]
	v_fmac_f64_e32 v[70:71], v[36:37], v[82:83]
	s_delay_alu instid0(VALU_DEP_4) | instskip(NEXT) | instid1(VALU_DEP_4)
	v_fmac_f64_e32 v[86:87], v[34:35], v[78:79]
	v_fmac_f64_e32 v[88:89], v[36:37], v[78:79]
	global_load_b128 v[34:37], v48, s[6:7] scale_offset
	s_clause 0x1
	global_store_b128 v[52:53], v[10:13], off
	global_store_b128 v[62:63], v[42:45], off
	s_wait_xcnt 0x0
	v_mul_f64_e64 v[42:43], v[30:31], -v[32:33]
	s_wait_loadcnt 0x2
	v_fmac_f64_e32 v[68:69], v[64:65], v[78:79]
	v_fmac_f64_e32 v[70:71], v[66:67], v[78:79]
	v_fma_f64 v[22:23], -v[64:65], v[82:83], v[86:87]
	v_fma_f64 v[78:79], -v[66:67], v[82:83], v[88:89]
	v_fmac_f64_e32 v[42:43], v[32:33], v[30:31]
	v_fma_f64 v[68:69], -v[66:67], v[76:77], v[68:69]
	v_fmac_f64_e32 v[70:71], v[64:65], v[76:77]
	v_fma_f64 v[76:77], v[66:67], -v[80:81], v[22:23]
	s_clause 0x1
	global_load_b128 v[26:29], v48, s[8:9] scale_offset
	global_load_b128 v[22:25], v48, s[10:11] scale_offset
	v_fmac_f64_e32 v[78:79], v[64:65], v[80:81]
	v_mul_f64_e32 v[64:65], v[32:33], v[32:33]
	s_clause 0x1
	global_store_b128 v[58:59], v[30:33], off
	global_store_b128 v[60:61], v[72:75], off
	s_clause 0x1
	global_store_b128 v[38:39], v[68:71], off
	global_store_b128 v[84:85], v[76:79], off
                                        ; implicit-def: $vgpr68_vgpr69
	v_fmac_f64_e32 v[64:65], v[30:31], v[30:31]
	s_wait_loadcnt 0x2
	v_fmac_f64_e32 v[42:43], v[36:37], v[34:35]
	s_delay_alu instid0(VALU_DEP_2) | instskip(NEXT) | instid1(VALU_DEP_2)
	v_fmac_f64_e32 v[64:65], v[34:35], v[34:35]
	v_fma_f64 v[42:43], v[34:35], -v[36:37], v[42:43]
	s_delay_alu instid0(VALU_DEP_2) | instskip(NEXT) | instid1(VALU_DEP_2)
	v_fmac_f64_e32 v[64:65], v[36:37], v[36:37]
	v_cmp_gt_f64_e32 vcc_lo, 0, v[42:43]
	v_xor_b32_e32 v41, 0x80000000, v43
	s_delay_alu instid0(VALU_DEP_1) | instskip(SKIP_1) | instid1(VALU_DEP_1)
	v_dual_mov_b32 v66, v42 :: v_dual_cndmask_b32 v67, v43, v41
	s_wait_xcnt 0x0
	v_cmpx_ngt_f64_e32 v[64:65], v[66:67]
	s_xor_b32 s23, exec_lo, s23
	s_cbranch_execz .LBB11_14
; %bb.11:                               ;   in Loop: Header=BB11_4 Depth=1
	v_mov_b64_e32 v[68:69], 0
	s_mov_b32 s24, exec_lo
	v_cmpx_neq_f64_e32 0, v[42:43]
	s_cbranch_execz .LBB11_13
; %bb.12:                               ;   in Loop: Header=BB11_4 Depth=1
	v_div_scale_f64 v[42:43], null, v[66:67], v[66:67], v[64:65]
	v_div_scale_f64 v[60:61], vcc_lo, v[64:65], v[66:67], v[64:65]
	s_delay_alu instid0(VALU_DEP_2) | instskip(SKIP_1) | instid1(TRANS32_DEP_1)
	v_rcp_f64_e32 v[44:45], v[42:43]
	v_nop
	v_fma_f64 v[58:59], -v[42:43], v[44:45], 1.0
	s_delay_alu instid0(VALU_DEP_1) | instskip(NEXT) | instid1(VALU_DEP_1)
	v_fmac_f64_e32 v[44:45], v[44:45], v[58:59]
	v_fma_f64 v[58:59], -v[42:43], v[44:45], 1.0
	s_delay_alu instid0(VALU_DEP_1) | instskip(NEXT) | instid1(VALU_DEP_1)
	v_fmac_f64_e32 v[44:45], v[44:45], v[58:59]
	v_mul_f64_e32 v[58:59], v[60:61], v[44:45]
	s_delay_alu instid0(VALU_DEP_1) | instskip(NEXT) | instid1(VALU_DEP_1)
	v_fma_f64 v[42:43], -v[42:43], v[58:59], v[60:61]
	v_div_fmas_f64 v[42:43], v[42:43], v[44:45], v[58:59]
	s_delay_alu instid0(VALU_DEP_1) | instskip(NEXT) | instid1(VALU_DEP_1)
	v_div_fixup_f64 v[42:43], v[42:43], v[66:67], v[64:65]
	v_fma_f64 v[42:43], v[42:43], v[42:43], 1.0
	s_delay_alu instid0(VALU_DEP_1) | instskip(SKIP_1) | instid1(VALU_DEP_1)
	v_cmp_gt_f64_e32 vcc_lo, 0x10000000, v[42:43]
	v_cndmask_b32_e64 v41, 0, 0x100, vcc_lo
	v_ldexp_f64 v[42:43], v[42:43], v41
	v_cndmask_b32_e64 v41, 0, 0xffffff80, vcc_lo
	s_delay_alu instid0(VALU_DEP_2) | instskip(SKIP_1) | instid1(TRANS32_DEP_1)
	v_rsq_f64_e32 v[44:45], v[42:43]
	v_cmp_class_f64_e64 vcc_lo, v[42:43], 0x260
	v_mul_f64_e32 v[58:59], v[42:43], v[44:45]
	v_mul_f64_e32 v[44:45], 0.5, v[44:45]
	s_delay_alu instid0(VALU_DEP_1) | instskip(NEXT) | instid1(VALU_DEP_1)
	v_fma_f64 v[60:61], -v[44:45], v[58:59], 0.5
	v_fmac_f64_e32 v[58:59], v[58:59], v[60:61]
	v_fmac_f64_e32 v[44:45], v[44:45], v[60:61]
	s_delay_alu instid0(VALU_DEP_2) | instskip(NEXT) | instid1(VALU_DEP_1)
	v_fma_f64 v[60:61], -v[58:59], v[58:59], v[42:43]
	v_fmac_f64_e32 v[58:59], v[60:61], v[44:45]
	s_delay_alu instid0(VALU_DEP_1) | instskip(NEXT) | instid1(VALU_DEP_1)
	v_fma_f64 v[60:61], -v[58:59], v[58:59], v[42:43]
	v_fmac_f64_e32 v[58:59], v[60:61], v[44:45]
	s_delay_alu instid0(VALU_DEP_1) | instskip(NEXT) | instid1(VALU_DEP_1)
	v_ldexp_f64 v[44:45], v[58:59], v41
	v_dual_cndmask_b32 v43, v45, v43 :: v_dual_cndmask_b32 v42, v44, v42
	s_delay_alu instid0(VALU_DEP_1)
	v_mul_f64_e32 v[68:69], v[66:67], v[42:43]
.LBB11_13:                              ;   in Loop: Header=BB11_4 Depth=1
	s_or_b32 exec_lo, exec_lo, s24
                                        ; implicit-def: $vgpr64_vgpr65
                                        ; implicit-def: $vgpr66_vgpr67
.LBB11_14:                              ;   in Loop: Header=BB11_4 Depth=1
	s_or_saveexec_b32 s23, s23
	v_dual_ashrrev_i32 v49, 31, v48 :: v_dual_ashrrev_i32 v51, 31, v50
	v_ashrrev_i32_e32 v41, 31, v40
	s_delay_alu instid0(VALU_DEP_2) | instskip(NEXT) | instid1(VALU_DEP_3)
	v_lshlrev_b64_e32 v[42:43], 4, v[48:49]
	v_lshl_add_u64 v[44:45], v[50:51], 4, s[12:13]
	s_delay_alu instid0(VALU_DEP_2)
	v_add_nc_u64_e32 v[62:63], s[6:7], v[42:43]
	v_add_nc_u64_e32 v[60:61], s[8:9], v[42:43]
	;; [unrolled: 1-line block ×3, first 2 shown]
	v_lshl_add_u64 v[42:43], v[40:41], 4, s[12:13]
	s_xor_b32 exec_lo, exec_lo, s23
	s_cbranch_execz .LBB11_3
; %bb.15:                               ;   in Loop: Header=BB11_4 Depth=1
	v_div_scale_f64 v[68:69], null, v[64:65], v[64:65], v[66:67]
	v_div_scale_f64 v[74:75], vcc_lo, v[66:67], v[64:65], v[66:67]
	s_delay_alu instid0(VALU_DEP_2) | instskip(SKIP_1) | instid1(TRANS32_DEP_1)
	v_rcp_f64_e32 v[70:71], v[68:69]
	v_nop
	v_fma_f64 v[72:73], -v[68:69], v[70:71], 1.0
	s_delay_alu instid0(VALU_DEP_1) | instskip(NEXT) | instid1(VALU_DEP_1)
	v_fmac_f64_e32 v[70:71], v[70:71], v[72:73]
	v_fma_f64 v[72:73], -v[68:69], v[70:71], 1.0
	s_delay_alu instid0(VALU_DEP_1) | instskip(NEXT) | instid1(VALU_DEP_1)
	v_fmac_f64_e32 v[70:71], v[70:71], v[72:73]
	v_mul_f64_e32 v[72:73], v[74:75], v[70:71]
	s_delay_alu instid0(VALU_DEP_1) | instskip(NEXT) | instid1(VALU_DEP_1)
	v_fma_f64 v[68:69], -v[68:69], v[72:73], v[74:75]
	v_div_fmas_f64 v[68:69], v[68:69], v[70:71], v[72:73]
	s_delay_alu instid0(VALU_DEP_1) | instskip(NEXT) | instid1(VALU_DEP_1)
	v_div_fixup_f64 v[66:67], v[68:69], v[64:65], v[66:67]
	v_fma_f64 v[66:67], v[66:67], v[66:67], 1.0
	s_delay_alu instid0(VALU_DEP_1) | instskip(SKIP_1) | instid1(VALU_DEP_1)
	v_cmp_gt_f64_e32 vcc_lo, 0x10000000, v[66:67]
	v_cndmask_b32_e64 v41, 0, 0x100, vcc_lo
	v_ldexp_f64 v[66:67], v[66:67], v41
	v_cndmask_b32_e64 v41, 0, 0xffffff80, vcc_lo
	s_delay_alu instid0(VALU_DEP_2) | instskip(SKIP_1) | instid1(TRANS32_DEP_1)
	v_rsq_f64_e32 v[68:69], v[66:67]
	v_cmp_class_f64_e64 vcc_lo, v[66:67], 0x260
	v_mul_f64_e32 v[70:71], v[66:67], v[68:69]
	v_mul_f64_e32 v[68:69], 0.5, v[68:69]
	s_delay_alu instid0(VALU_DEP_1) | instskip(NEXT) | instid1(VALU_DEP_1)
	v_fma_f64 v[72:73], -v[68:69], v[70:71], 0.5
	v_fmac_f64_e32 v[70:71], v[70:71], v[72:73]
	v_fmac_f64_e32 v[68:69], v[68:69], v[72:73]
	s_delay_alu instid0(VALU_DEP_2) | instskip(NEXT) | instid1(VALU_DEP_1)
	v_fma_f64 v[72:73], -v[70:71], v[70:71], v[66:67]
	v_fmac_f64_e32 v[70:71], v[72:73], v[68:69]
	s_delay_alu instid0(VALU_DEP_1) | instskip(NEXT) | instid1(VALU_DEP_1)
	v_fma_f64 v[72:73], -v[70:71], v[70:71], v[66:67]
	v_fmac_f64_e32 v[70:71], v[72:73], v[68:69]
	s_delay_alu instid0(VALU_DEP_1) | instskip(NEXT) | instid1(VALU_DEP_1)
	v_ldexp_f64 v[68:69], v[70:71], v41
	v_dual_cndmask_b32 v67, v69, v67 :: v_dual_cndmask_b32 v66, v68, v66
	s_delay_alu instid0(VALU_DEP_1)
	v_mul_f64_e32 v[68:69], v[64:65], v[66:67]
	s_branch .LBB11_3
.LBB11_16:
	s_wait_xcnt 0x0
	s_add_co_i32 s0, s16, -1
	v_mad_u32 v38, s17, s20, v1
	s_mul_i32 s0, s18, s0
                                        ; implicit-def: $vgpr66_vgpr67
	s_delay_alu instid0(SALU_CYCLE_1) | instskip(NEXT) | instid1(SALU_CYCLE_1)
	s_sub_co_i32 s1, s0, s18
	v_dual_add_nc_u32 v56, s0, v1 :: v_dual_add_nc_u32 v50, s1, v1
	s_wait_kmcnt 0x0
	s_clause 0x2
	global_load_b128 v[34:37], v56, s[4:5] scale_offset
	global_load_b128 v[30:33], v56, s[6:7] scale_offset
	;; [unrolled: 1-line block ×3, first 2 shown]
	v_add_nc_u32_e32 v40, s17, v38
	s_wait_xcnt 0x2
	s_mov_b32 s4, exec_lo
	v_dual_ashrrev_i32 v51, 31, v50 :: v_dual_ashrrev_i32 v57, 31, v56
	s_delay_alu instid0(VALU_DEP_1)
	v_lshlrev_b64_e32 v[44:45], 4, v[50:51]
	s_wait_loadcnt 0x2
	v_mul_f64_e64 v[42:43], v[34:35], -v[36:37]
	s_clause 0x1
	global_load_b128 v[18:21], v56, s[8:9] scale_offset
	global_load_b128 v[10:13], v56, s[10:11] scale_offset
	s_clause 0x1
	global_load_b128 v[26:29], v50, s[8:9] scale_offset
	global_load_b128 v[14:17], v50, s[10:11] scale_offset
	;; [unrolled: 3-line block ×3, first 2 shown]
	v_ashrrev_i32_e32 v41, 31, v40
	v_fmac_f64_e32 v[42:43], v[36:37], v[34:35]
	s_wait_loadcnt 0x6
	s_delay_alu instid0(VALU_DEP_1) | instskip(NEXT) | instid1(VALU_DEP_1)
	v_fmac_f64_e32 v[42:43], v[24:25], v[22:23]
	v_fma_f64 v[46:47], v[22:23], -v[24:25], v[42:43]
	v_lshlrev_b64_e32 v[42:43], 4, v[56:57]
	s_delay_alu instid0(VALU_DEP_2) | instskip(NEXT) | instid1(VALU_DEP_3)
	v_xor_b32_e32 v39, 0x80000000, v47
	v_cmp_gt_f64_e32 vcc_lo, 0, v[46:47]
	v_dual_mul_f64 v[62:63], v[36:37], v[36:37] :: v_dual_mov_b32 v64, v46
	s_delay_alu instid0(VALU_DEP_3) | instskip(NEXT) | instid1(VALU_DEP_2)
	v_cndmask_b32_e32 v65, v47, v39, vcc_lo
	v_fmac_f64_e32 v[62:63], v[34:35], v[34:35]
	v_ashrrev_i32_e32 v39, 31, v38
	s_delay_alu instid0(VALU_DEP_2) | instskip(NEXT) | instid1(VALU_DEP_1)
	v_fmac_f64_e32 v[62:63], v[22:23], v[22:23]
	v_fmac_f64_e32 v[62:63], v[24:25], v[24:25]
	s_wait_xcnt 0x0
	s_delay_alu instid0(VALU_DEP_1)
	v_cmpx_ngt_f64_e32 v[62:63], v[64:65]
	s_xor_b32 s4, exec_lo, s4
	s_cbranch_execz .LBB11_20
; %bb.17:
	v_mov_b64_e32 v[66:67], 0
	s_mov_b32 s5, exec_lo
	v_cmpx_neq_f64_e32 0, v[46:47]
	s_cbranch_execz .LBB11_19
; %bb.18:
	v_div_scale_f64 v[46:47], null, v[64:65], v[64:65], v[62:63]
	v_div_scale_f64 v[54:55], vcc_lo, v[62:63], v[64:65], v[62:63]
	s_delay_alu instid0(VALU_DEP_2) | instskip(SKIP_1) | instid1(TRANS32_DEP_1)
	v_rcp_f64_e32 v[48:49], v[46:47]
	v_nop
	v_fma_f64 v[52:53], -v[46:47], v[48:49], 1.0
	s_delay_alu instid0(VALU_DEP_1) | instskip(NEXT) | instid1(VALU_DEP_1)
	v_fmac_f64_e32 v[48:49], v[48:49], v[52:53]
	v_fma_f64 v[52:53], -v[46:47], v[48:49], 1.0
	s_delay_alu instid0(VALU_DEP_1) | instskip(NEXT) | instid1(VALU_DEP_1)
	v_fmac_f64_e32 v[48:49], v[48:49], v[52:53]
	v_mul_f64_e32 v[52:53], v[54:55], v[48:49]
	s_delay_alu instid0(VALU_DEP_1) | instskip(NEXT) | instid1(VALU_DEP_1)
	v_fma_f64 v[46:47], -v[46:47], v[52:53], v[54:55]
	v_div_fmas_f64 v[46:47], v[46:47], v[48:49], v[52:53]
	s_delay_alu instid0(VALU_DEP_1) | instskip(NEXT) | instid1(VALU_DEP_1)
	v_div_fixup_f64 v[46:47], v[46:47], v[64:65], v[62:63]
	v_fma_f64 v[46:47], v[46:47], v[46:47], 1.0
	s_delay_alu instid0(VALU_DEP_1) | instskip(SKIP_1) | instid1(VALU_DEP_1)
	v_cmp_gt_f64_e32 vcc_lo, 0x10000000, v[46:47]
	v_cndmask_b32_e64 v48, 0, 0x100, vcc_lo
	v_ldexp_f64 v[46:47], v[46:47], v48
	s_delay_alu instid0(VALU_DEP_1) | instskip(SKIP_1) | instid1(TRANS32_DEP_1)
	v_rsq_f64_e32 v[48:49], v[46:47]
	v_nop
	v_mul_f64_e32 v[52:53], v[46:47], v[48:49]
	v_mul_f64_e32 v[48:49], 0.5, v[48:49]
	s_delay_alu instid0(VALU_DEP_1) | instskip(NEXT) | instid1(VALU_DEP_1)
	v_fma_f64 v[54:55], -v[48:49], v[52:53], 0.5
	v_fmac_f64_e32 v[52:53], v[52:53], v[54:55]
	v_fmac_f64_e32 v[48:49], v[48:49], v[54:55]
	s_delay_alu instid0(VALU_DEP_2) | instskip(NEXT) | instid1(VALU_DEP_1)
	v_fma_f64 v[54:55], -v[52:53], v[52:53], v[46:47]
	v_fmac_f64_e32 v[52:53], v[54:55], v[48:49]
	s_delay_alu instid0(VALU_DEP_1) | instskip(NEXT) | instid1(VALU_DEP_1)
	v_fma_f64 v[54:55], -v[52:53], v[52:53], v[46:47]
	v_fmac_f64_e32 v[52:53], v[54:55], v[48:49]
	v_cndmask_b32_e64 v48, 0, 0xffffff80, vcc_lo
	v_cmp_class_f64_e64 vcc_lo, v[46:47], 0x260
	s_delay_alu instid0(VALU_DEP_2) | instskip(NEXT) | instid1(VALU_DEP_1)
	v_ldexp_f64 v[48:49], v[52:53], v48
	v_dual_cndmask_b32 v47, v49, v47 :: v_dual_cndmask_b32 v46, v48, v46
	s_delay_alu instid0(VALU_DEP_1)
	v_mul_f64_e32 v[66:67], v[64:65], v[46:47]
.LBB11_19:
	s_or_b32 exec_lo, exec_lo, s5
                                        ; implicit-def: $vgpr62_vgpr63
                                        ; implicit-def: $vgpr64_vgpr65
.LBB11_20:
	s_or_saveexec_b32 s4, s4
	v_add_nc_u64_e32 v[54:55], s[6:7], v[44:45]
	v_add_nc_u64_e32 v[58:59], s[6:7], v[42:43]
	;; [unrolled: 1-line block ×6, first 2 shown]
	v_lshl_add_u64 v[42:43], v[38:39], 4, s[12:13]
	v_lshl_add_u64 v[44:45], v[40:41], 4, s[12:13]
	s_xor_b32 exec_lo, exec_lo, s4
	s_cbranch_execz .LBB11_22
; %bb.21:
	v_div_scale_f64 v[66:67], null, v[62:63], v[62:63], v[64:65]
	v_div_scale_f64 v[72:73], vcc_lo, v[64:65], v[62:63], v[64:65]
	s_delay_alu instid0(VALU_DEP_2) | instskip(SKIP_1) | instid1(TRANS32_DEP_1)
	v_rcp_f64_e32 v[68:69], v[66:67]
	v_nop
	v_fma_f64 v[70:71], -v[66:67], v[68:69], 1.0
	s_delay_alu instid0(VALU_DEP_1) | instskip(NEXT) | instid1(VALU_DEP_1)
	v_fmac_f64_e32 v[68:69], v[68:69], v[70:71]
	v_fma_f64 v[70:71], -v[66:67], v[68:69], 1.0
	s_delay_alu instid0(VALU_DEP_1) | instskip(NEXT) | instid1(VALU_DEP_1)
	v_fmac_f64_e32 v[68:69], v[68:69], v[70:71]
	v_mul_f64_e32 v[70:71], v[72:73], v[68:69]
	s_delay_alu instid0(VALU_DEP_1) | instskip(NEXT) | instid1(VALU_DEP_1)
	v_fma_f64 v[66:67], -v[66:67], v[70:71], v[72:73]
	v_div_fmas_f64 v[66:67], v[66:67], v[68:69], v[70:71]
	s_delay_alu instid0(VALU_DEP_1) | instskip(NEXT) | instid1(VALU_DEP_1)
	v_div_fixup_f64 v[64:65], v[66:67], v[62:63], v[64:65]
	v_fma_f64 v[64:65], v[64:65], v[64:65], 1.0
	s_delay_alu instid0(VALU_DEP_1) | instskip(SKIP_1) | instid1(VALU_DEP_1)
	v_cmp_gt_f64_e32 vcc_lo, 0x10000000, v[64:65]
	v_cndmask_b32_e64 v41, 0, 0x100, vcc_lo
	v_ldexp_f64 v[64:65], v[64:65], v41
	v_cndmask_b32_e64 v41, 0, 0xffffff80, vcc_lo
	s_delay_alu instid0(VALU_DEP_2) | instskip(SKIP_1) | instid1(TRANS32_DEP_1)
	v_rsq_f64_e32 v[66:67], v[64:65]
	v_cmp_class_f64_e64 vcc_lo, v[64:65], 0x260
	v_mul_f64_e32 v[68:69], v[64:65], v[66:67]
	v_mul_f64_e32 v[66:67], 0.5, v[66:67]
	s_delay_alu instid0(VALU_DEP_1) | instskip(NEXT) | instid1(VALU_DEP_1)
	v_fma_f64 v[70:71], -v[66:67], v[68:69], 0.5
	v_fmac_f64_e32 v[68:69], v[68:69], v[70:71]
	v_fmac_f64_e32 v[66:67], v[66:67], v[70:71]
	s_delay_alu instid0(VALU_DEP_2) | instskip(NEXT) | instid1(VALU_DEP_1)
	v_fma_f64 v[70:71], -v[68:69], v[68:69], v[64:65]
	v_fmac_f64_e32 v[68:69], v[70:71], v[66:67]
	s_delay_alu instid0(VALU_DEP_1) | instskip(NEXT) | instid1(VALU_DEP_1)
	v_fma_f64 v[70:71], -v[68:69], v[68:69], v[64:65]
	v_fmac_f64_e32 v[68:69], v[70:71], v[66:67]
	s_delay_alu instid0(VALU_DEP_1) | instskip(NEXT) | instid1(VALU_DEP_1)
	v_ldexp_f64 v[66:67], v[68:69], v41
	v_dual_cndmask_b32 v65, v67, v65 :: v_dual_cndmask_b32 v64, v66, v64
	s_delay_alu instid0(VALU_DEP_1)
	v_mul_f64_e32 v[66:67], v[62:63], v[64:65]
.LBB11_22:
	s_or_b32 exec_lo, exec_lo, s4
	s_delay_alu instid0(VALU_DEP_1) | instskip(SKIP_3) | instid1(VALU_DEP_1)
	v_cmp_gt_f64_e32 vcc_lo, 0x10000000, v[66:67]
	s_sub_co_i32 s1, s1, s18
	v_mul_f64_e32 v[74:75], 0x80000000, v[36:37]
	v_cndmask_b32_e64 v41, 0, 0x100, vcc_lo
	v_ldexp_f64 v[62:63], v[66:67], v41
	v_cndmask_b32_e64 v41, 0, 0xffffff80, vcc_lo
	s_delay_alu instid0(VALU_DEP_2) | instskip(SKIP_1) | instid1(TRANS32_DEP_1)
	v_rsq_f64_e32 v[64:65], v[62:63]
	v_cmp_class_f64_e64 vcc_lo, v[62:63], 0x260
	v_mul_f64_e32 v[66:67], v[62:63], v[64:65]
	v_mul_f64_e32 v[64:65], 0.5, v[64:65]
	s_delay_alu instid0(VALU_DEP_1) | instskip(NEXT) | instid1(VALU_DEP_1)
	v_fma_f64 v[68:69], -v[64:65], v[66:67], 0.5
	v_fmac_f64_e32 v[66:67], v[66:67], v[68:69]
	v_fmac_f64_e32 v[64:65], v[64:65], v[68:69]
	s_delay_alu instid0(VALU_DEP_2) | instskip(NEXT) | instid1(VALU_DEP_1)
	v_fma_f64 v[68:69], -v[66:67], v[66:67], v[62:63]
	v_fmac_f64_e32 v[66:67], v[68:69], v[64:65]
	s_delay_alu instid0(VALU_DEP_1) | instskip(NEXT) | instid1(VALU_DEP_1)
	v_fma_f64 v[68:69], -v[66:67], v[66:67], v[62:63]
	v_fmac_f64_e32 v[66:67], v[68:69], v[64:65]
	s_delay_alu instid0(VALU_DEP_1) | instskip(SKIP_3) | instid1(VALU_DEP_2)
	v_ldexp_f64 v[64:65], v[66:67], v41
	v_add_nc_u32_e32 v41, s1, v1
	s_sub_co_i32 s1, s1, s18
	s_cmp_lt_i32 s16, 5
	v_dual_add_nc_u32 v1, s1, v1 :: v_dual_cndmask_b32 v63, v65, v63, vcc_lo
	s_delay_alu instid0(VALU_DEP_3) | instskip(NEXT) | instid1(VALU_DEP_1)
	v_cndmask_b32_e32 v62, v64, v62, vcc_lo
	v_fma_f64 v[64:65], v[62:63], v[62:63], 0
	s_delay_alu instid0(VALU_DEP_1) | instskip(SKIP_1) | instid1(VALU_DEP_2)
	v_div_scale_f64 v[66:67], null, v[64:65], v[64:65], 1.0
	v_div_scale_f64 v[72:73], vcc_lo, 1.0, v[64:65], 1.0
	v_rcp_f64_e32 v[68:69], v[66:67]
	v_nop
	s_delay_alu instid0(TRANS32_DEP_1) | instskip(NEXT) | instid1(VALU_DEP_1)
	v_fma_f64 v[70:71], -v[66:67], v[68:69], 1.0
	v_fmac_f64_e32 v[68:69], v[68:69], v[70:71]
	s_delay_alu instid0(VALU_DEP_1) | instskip(NEXT) | instid1(VALU_DEP_1)
	v_fma_f64 v[70:71], -v[66:67], v[68:69], 1.0
	v_fmac_f64_e32 v[68:69], v[68:69], v[70:71]
	s_delay_alu instid0(VALU_DEP_1) | instskip(NEXT) | instid1(VALU_DEP_1)
	v_mul_f64_e32 v[70:71], v[72:73], v[68:69]
	v_fma_f64 v[66:67], -v[66:67], v[70:71], v[72:73]
	v_mul_f64_e32 v[72:73], 0x80000000, v[34:35]
	s_delay_alu instid0(VALU_DEP_2) | instskip(SKIP_2) | instid1(VALU_DEP_3)
	v_div_fmas_f64 v[66:67], v[66:67], v[68:69], v[70:71]
	v_mul_f64_e32 v[70:71], 0x80000000, v[22:23]
	v_mul_f64_e32 v[68:69], 0x80000000, v[24:25]
	v_div_fixup_f64 v[64:65], v[66:67], v[64:65], 1.0
	s_delay_alu instid0(VALU_DEP_3) | instskip(NEXT) | instid1(VALU_DEP_1)
	v_fma_f64 v[66:67], -v[24:25], v[62:63], v[70:71]
	v_mul_f64_e32 v[66:67], v[66:67], v[64:65]
	v_fma_f64 v[72:73], -v[36:37], v[62:63], v[72:73]
	v_fmac_f64_e32 v[68:69], v[22:23], v[62:63]
	v_fmac_f64_e32 v[74:75], v[34:35], v[62:63]
	s_delay_alu instid0(VALU_DEP_3) | instskip(NEXT) | instid1(VALU_DEP_3)
	v_mul_f64_e32 v[70:71], v[72:73], v[64:65]
	v_mul_f64_e32 v[68:69], v[68:69], v[64:65]
	s_delay_alu instid0(VALU_DEP_3) | instskip(SKIP_1) | instid1(VALU_DEP_4)
	v_mul_f64_e32 v[64:65], v[74:75], v[64:65]
	v_mul_f64_e64 v[74:75], v[30:31], -v[66:67]
	v_mul_f64_e64 v[72:73], v[70:71], -v[36:37]
	v_mul_f64_e32 v[62:63], v[34:35], v[70:71]
	v_mul_f64_e64 v[76:77], v[70:71], -v[32:33]
	s_delay_alu instid0(VALU_DEP_4) | instskip(NEXT) | instid1(VALU_DEP_4)
	v_fmac_f64_e32 v[74:75], v[32:33], v[68:69]
	v_fmac_f64_e32 v[72:73], v[34:35], v[64:65]
	v_mul_f64_e32 v[34:35], v[30:31], v[70:71]
	s_delay_alu instid0(VALU_DEP_4)
	v_fmac_f64_e32 v[76:77], v[30:31], v[64:65]
	v_fmac_f64_e32 v[62:63], v[36:37], v[64:65]
	v_mul_f64_e32 v[36:37], v[32:33], v[66:67]
	v_fmac_f64_e32 v[72:73], v[22:23], v[68:69]
	v_fmac_f64_e32 v[34:35], v[32:33], v[64:65]
	s_wait_loadcnt 0x3
	v_fmac_f64_e32 v[76:77], v[26:27], v[68:69]
	v_fmac_f64_e32 v[62:63], v[24:25], v[68:69]
	;; [unrolled: 1-line block ×3, first 2 shown]
	v_mul_f64_e32 v[30:31], v[20:21], v[66:67]
	v_fmac_f64_e32 v[34:35], v[28:29], v[68:69]
	v_fma_f64 v[32:33], -v[28:29], v[66:67], v[76:77]
	v_lshl_add_u64 v[76:77], v[56:57], 4, s[2:3]
	v_fmac_f64_e32 v[62:63], v[22:23], v[66:67]
	v_fmac_f64_e32 v[30:31], v[18:19], v[68:69]
	;; [unrolled: 1-line block ×3, first 2 shown]
	s_wait_loadcnt 0x2
	s_delay_alu instid0(VALU_DEP_2) | instskip(SKIP_4) | instid1(VALU_DEP_2)
	v_fma_f64 v[30:31], -v[14:15], v[64:65], v[30:31]
	global_store_b128 v[52:53], v[32:35], off
	s_wait_xcnt 0x0
	v_mul_f64_e64 v[32:33], v[18:19], -v[66:67]
	v_fma_f64 v[30:31], v[16:17], -v[70:71], v[30:31]
	v_fmac_f64_e32 v[32:33], v[20:21], v[68:69]
	s_delay_alu instid0(VALU_DEP_1) | instskip(NEXT) | instid1(VALU_DEP_1)
	v_fma_f64 v[32:33], -v[16:17], v[64:65], v[32:33]
	v_fmac_f64_e32 v[32:33], v[14:15], v[70:71]
	global_store_b128 v[60:61], v[30:33], off
	global_load_b128 v[30:33], v[76:77], off
	v_fma_f64 v[60:61], -v[24:25], v[66:67], v[72:73]
	v_mul_f64_e64 v[72:73], v[70:71], -v[20:21]
	global_store_b128 v[54:55], v[60:63], off
	s_wait_xcnt 0x0
	v_lshl_add_u64 v[60:61], v[50:51], 4, s[2:3]
	v_fmac_f64_e32 v[72:73], v[18:19], v[64:65]
	s_delay_alu instid0(VALU_DEP_1)
	v_fmac_f64_e32 v[72:73], v[14:15], v[68:69]
	s_wait_loadcnt 0x0
	v_mul_f64_e64 v[78:79], v[70:71], -v[32:33]
	v_mul_f64_e32 v[80:81], v[66:67], v[32:33]
	v_mul_f64_e32 v[34:35], v[70:71], v[30:31]
	v_mul_f64_e64 v[82:83], v[30:31], -v[66:67]
	s_delay_alu instid0(VALU_DEP_4) | instskip(NEXT) | instid1(VALU_DEP_4)
	v_fmac_f64_e32 v[78:79], v[30:31], v[64:65]
	v_fmac_f64_e32 v[80:81], v[30:31], v[68:69]
	v_fma_f64 v[30:31], -v[28:29], v[64:65], v[74:75]
	v_fmac_f64_e32 v[34:35], v[32:33], v[64:65]
	v_fmac_f64_e32 v[82:83], v[32:33], v[68:69]
	v_fma_f64 v[32:33], -v[26:27], v[64:65], v[36:37]
	s_delay_alu instid0(VALU_DEP_4) | instskip(NEXT) | instid1(VALU_DEP_2)
	v_fmac_f64_e32 v[30:31], v[26:27], v[70:71]
	v_fma_f64 v[28:29], v[28:29], -v[70:71], v[32:33]
	s_delay_alu instid0(VALU_DEP_2) | instskip(SKIP_2) | instid1(VALU_DEP_1)
	v_mul_f64_e32 v[26:27], v[30:31], v[30:31]
	global_store_b128 v[58:59], v[28:31], off
	v_fmac_f64_e32 v[26:27], v[28:29], v[28:29]
	v_div_scale_f64 v[22:23], null, v[26:27], v[26:27], 1.0
	v_div_scale_f64 v[36:37], vcc_lo, 1.0, v[26:27], 1.0
	s_delay_alu instid0(VALU_DEP_2) | instskip(SKIP_1) | instid1(TRANS32_DEP_1)
	v_rcp_f64_e32 v[32:33], v[22:23]
	v_nop
	v_fma_f64 v[24:25], -v[22:23], v[32:33], 1.0
	s_delay_alu instid0(VALU_DEP_1) | instskip(NEXT) | instid1(VALU_DEP_1)
	v_fmac_f64_e32 v[32:33], v[32:33], v[24:25]
	v_fma_f64 v[24:25], -v[22:23], v[32:33], 1.0
	s_delay_alu instid0(VALU_DEP_1) | instskip(NEXT) | instid1(VALU_DEP_1)
	v_fmac_f64_e32 v[32:33], v[32:33], v[24:25]
	v_mul_f64_e32 v[56:57], v[36:37], v[32:33]
	s_delay_alu instid0(VALU_DEP_1)
	v_fma_f64 v[36:37], -v[22:23], v[56:57], v[36:37]
	global_load_b128 v[22:25], v[60:61], off
	v_div_fmas_f64 v[32:33], v[36:37], v[32:33], v[56:57]
	global_load_b128 v[54:57], v[54:55], off
	v_div_fixup_f64 v[26:27], v[32:33], v[26:27], 1.0
	s_wait_loadcnt 0x1
	v_fma_f64 v[36:37], -v[24:25], v[64:65], v[82:83]
	v_fma_f64 v[50:51], -v[22:23], v[64:65], v[80:81]
	v_fmac_f64_e32 v[78:79], v[22:23], v[68:69]
	v_fmac_f64_e32 v[34:35], v[24:25], v[68:69]
	s_delay_alu instid0(VALU_DEP_4) | instskip(SKIP_1) | instid1(VALU_DEP_4)
	v_fmac_f64_e32 v[36:37], v[22:23], v[70:71]
	s_wait_xcnt 0x2
	v_fma_f64 v[58:59], v[24:25], -v[70:71], v[50:51]
	global_load_b128 v[50:53], v[52:53], off
	v_fma_f64 v[32:33], -v[24:25], v[66:67], v[78:79]
	v_fmac_f64_e32 v[34:35], v[22:23], v[66:67]
	v_mul_f64_e32 v[62:63], v[30:31], v[36:37]
	v_mul_f64_e64 v[30:31], v[30:31], -v[58:59]
	s_delay_alu instid0(VALU_DEP_2) | instskip(NEXT) | instid1(VALU_DEP_2)
	v_fmac_f64_e32 v[62:63], v[58:59], v[28:29]
	v_fmac_f64_e32 v[30:31], v[36:37], v[28:29]
	s_delay_alu instid0(VALU_DEP_2) | instskip(NEXT) | instid1(VALU_DEP_2)
	v_mul_f64_e32 v[22:23], v[26:27], v[62:63]
	v_mul_f64_e32 v[24:25], v[26:27], v[30:31]
	s_clause 0x2
	global_store_b128 v[60:61], v[32:35], off
	global_store_b128 v[76:77], v[22:25], off
	global_load_b128 v[26:29], v[60:61], off
	s_wait_loadcnt 0x2
	s_wait_xcnt 0x2
	v_mul_f64_e32 v[34:35], v[56:57], v[56:57]
	s_delay_alu instid0(VALU_DEP_1) | instskip(NEXT) | instid1(VALU_DEP_1)
	v_fmac_f64_e32 v[34:35], v[54:55], v[54:55]
	v_div_scale_f64 v[36:37], null, v[34:35], v[34:35], 1.0
	s_delay_alu instid0(VALU_DEP_1) | instskip(SKIP_1) | instid1(TRANS32_DEP_1)
	v_rcp_f64_e32 v[58:59], v[36:37]
	v_nop
	v_fma_f64 v[30:31], -v[36:37], v[58:59], 1.0
	s_delay_alu instid0(VALU_DEP_1)
	v_fmac_f64_e32 v[58:59], v[58:59], v[30:31]
	global_load_b128 v[30:33], v41, s[6:7] scale_offset
	s_wait_loadcnt 0x2
	v_mul_f64_e64 v[62:63], v[24:25], -v[52:53]
	s_wait_xcnt 0x2
	v_mul_f64_e32 v[24:25], v[24:25], v[50:51]
	s_delay_alu instid0(VALU_DEP_2) | instskip(NEXT) | instid1(VALU_DEP_2)
	v_fmac_f64_e32 v[62:63], v[50:51], v[22:23]
	v_fmac_f64_e32 v[24:25], v[52:53], v[22:23]
	v_fma_f64 v[22:23], -v[36:37], v[58:59], 1.0
	v_div_scale_f64 v[50:51], vcc_lo, 1.0, v[34:35], 1.0
	s_delay_alu instid0(VALU_DEP_2) | instskip(SKIP_1) | instid1(VALU_DEP_2)
	v_fmac_f64_e32 v[58:59], v[58:59], v[22:23]
	v_mul_f64_e32 v[22:23], v[18:19], v[70:71]
	v_mul_f64_e32 v[52:53], v[50:51], v[58:59]
	s_delay_alu instid0(VALU_DEP_2)
	v_fmac_f64_e32 v[22:23], v[20:21], v[64:65]
	s_wait_loadcnt 0x1
	v_add_f64_e64 v[26:27], v[26:27], -v[62:63]
	v_add_f64_e64 v[24:25], v[28:29], -v[24:25]
	v_mul_f64_e32 v[28:29], v[12:13], v[66:67]
	v_fma_f64 v[36:37], -v[36:37], v[52:53], v[50:51]
	v_mul_f64_e64 v[50:51], v[10:11], -v[66:67]
	v_fmac_f64_e32 v[22:23], v[16:17], v[68:69]
	s_delay_alu instid0(VALU_DEP_4) | instskip(NEXT) | instid1(VALU_DEP_4)
	v_fmac_f64_e32 v[28:29], v[10:11], v[68:69]
	v_div_fmas_f64 v[20:21], v[36:37], v[58:59], v[52:53]
	s_delay_alu instid0(VALU_DEP_4)
	v_fmac_f64_e32 v[50:51], v[12:13], v[68:69]
	v_mul_f64_e32 v[36:37], v[24:25], v[56:57]
	v_mul_f64_e64 v[52:53], v[56:57], -v[26:27]
	v_fmac_f64_e32 v[22:23], v[14:15], v[66:67]
	v_fma_f64 v[28:29], -v[6:7], v[64:65], v[28:29]
	v_fma_f64 v[18:19], -v[8:9], v[64:65], v[50:51]
	v_div_fixup_f64 v[50:51], v[20:21], v[34:35], 1.0
	v_fmac_f64_e32 v[36:37], v[26:27], v[54:55]
	v_fmac_f64_e32 v[52:53], v[24:25], v[54:55]
	v_fma_f64 v[20:21], -v[16:17], v[66:67], v[72:73]
	global_load_b128 v[24:27], v41, s[8:9] scale_offset
	v_fma_f64 v[16:17], v[8:9], -v[70:71], v[28:29]
	v_fmac_f64_e32 v[18:19], v[6:7], v[70:71]
	s_clause 0x1
	global_store_b128 v[46:47], v[20:23], off
	global_store_b128 v[48:49], v[16:19], off
	v_mul_f64_e32 v[34:35], v[36:37], v[50:51]
	v_mul_f64_e32 v[36:37], v[52:53], v[50:51]
	global_load_b128 v[14:17], v41, s[10:11] scale_offset
	s_clause 0x2
	global_store_b128 v[60:61], v[34:37], off
	global_load_b128 v[18:21], v[76:77], off
	global_load_b128 v[46:49], v41, s[2:3] scale_offset
	s_wait_loadcnt 0x4
	v_mul_f64_e32 v[22:23], v[32:33], v[32:33]
	s_delay_alu instid0(VALU_DEP_1) | instskip(NEXT) | instid1(VALU_DEP_1)
	v_fmac_f64_e32 v[22:23], v[30:31], v[30:31]
	v_div_scale_f64 v[28:29], null, v[22:23], v[22:23], 1.0
	v_div_scale_f64 v[62:63], vcc_lo, 1.0, v[22:23], 1.0
	s_delay_alu instid0(VALU_DEP_2) | instskip(SKIP_1) | instid1(TRANS32_DEP_1)
	v_rcp_f64_e32 v[54:55], v[28:29]
	v_nop
	v_fma_f64 v[50:51], -v[28:29], v[54:55], 1.0
	s_delay_alu instid0(VALU_DEP_1)
	v_fmac_f64_e32 v[54:55], v[54:55], v[50:51]
	global_load_b128 v[50:53], v1, s[6:7] scale_offset
	v_fma_f64 v[56:57], -v[28:29], v[54:55], 1.0
	s_wait_loadcnt 0x4
	v_mul_f64_e64 v[58:59], v[36:37], -v[26:27]
	s_wait_xcnt 0x3
	v_mul_f64_e32 v[36:37], v[24:25], v[36:37]
	s_delay_alu instid0(VALU_DEP_3) | instskip(NEXT) | instid1(VALU_DEP_3)
	v_fmac_f64_e32 v[54:55], v[54:55], v[56:57]
	v_fmac_f64_e32 v[58:59], v[24:25], v[34:35]
	s_delay_alu instid0(VALU_DEP_3) | instskip(NEXT) | instid1(VALU_DEP_3)
	v_fmac_f64_e32 v[36:37], v[26:27], v[34:35]
	v_mul_f64_e32 v[26:27], v[62:63], v[54:55]
	s_wait_loadcnt 0x2
	v_mul_f64_e32 v[24:25], v[20:21], v[14:15]
	v_mul_f64_e64 v[20:21], v[20:21], -v[16:17]
	s_wait_loadcnt 0x1
	v_add_f64_e64 v[34:35], v[46:47], -v[58:59]
	v_add_f64_e64 v[36:37], v[48:49], -v[36:37]
	s_delay_alu instid0(VALU_DEP_4) | instskip(NEXT) | instid1(VALU_DEP_4)
	v_fmac_f64_e32 v[24:25], v[16:17], v[18:19]
	v_fmac_f64_e32 v[20:21], v[14:15], v[18:19]
	v_fma_f64 v[16:17], -v[28:29], v[26:27], v[62:63]
	v_mul_f64_e64 v[28:29], v[70:71], -v[12:13]
	v_mul_f64_e32 v[14:15], v[10:11], v[70:71]
	v_add_f64_e64 v[18:19], v[36:37], -v[24:25]
	v_add_f64_e64 v[20:21], v[34:35], -v[20:21]
	v_div_fmas_f64 v[16:17], v[16:17], v[54:55], v[26:27]
	v_fmac_f64_e32 v[28:29], v[10:11], v[64:65]
	v_fmac_f64_e32 v[14:15], v[12:13], v[64:65]
	v_mad_u32 v36, s17, -3, v40
	v_mul_f64_e32 v[24:25], v[32:33], v[18:19]
	v_mul_f64_e64 v[26:27], v[32:33], -v[20:21]
	v_div_fixup_f64 v[10:11], v[16:17], v[22:23], 1.0
	v_fmac_f64_e32 v[28:29], v[6:7], v[68:69]
	v_fmac_f64_e32 v[14:15], v[8:9], v[68:69]
	v_mul_f64_e32 v[16:17], v[4:5], v[66:67]
	v_fmac_f64_e32 v[24:25], v[20:21], v[30:31]
	v_fmac_f64_e32 v[26:27], v[18:19], v[30:31]
	v_mul_f64_e64 v[18:19], v[2:3], -v[66:67]
	global_load_b128 v[20:23], v1, s[8:9] scale_offset
	v_fma_f64 v[12:13], -v[8:9], v[66:67], v[28:29]
	v_fmac_f64_e32 v[14:15], v[6:7], v[66:67]
	v_fmac_f64_e32 v[16:17], v[2:3], v[68:69]
	global_load_b128 v[6:9], v1, s[10:11] scale_offset
	v_mul_f64_e32 v[24:25], v[24:25], v[10:11]
	v_mul_f64_e32 v[26:27], v[10:11], v[26:27]
	v_fmac_f64_e32 v[18:19], v[4:5], v[68:69]
	s_clause 0x1
	global_store_b128 v41, v[24:27], s[2:3] scale_offset
	global_load_b128 v[28:31], v[60:61], off
	s_clause 0x1
	global_store_b128 v[42:43], v[12:15], off
	global_store_b128 v[44:45], v[16:19], off
	global_load_b128 v[10:13], v1, s[2:3] scale_offset
	global_load_b128 v[14:17], v36, s[12:13] scale_offset
	global_load_b128 v[32:35], v[76:77], off
	s_wait_loadcnt 0x6
	v_mul_f64_e32 v[18:19], v[52:53], v[52:53]
	s_delay_alu instid0(VALU_DEP_1) | instskip(SKIP_1) | instid1(VALU_DEP_1)
	v_fmac_f64_e32 v[18:19], v[50:51], v[50:51]
	s_wait_xcnt 0x1
	v_div_scale_f64 v[36:37], null, v[18:19], v[18:19], 1.0
	s_delay_alu instid0(VALU_DEP_1) | instskip(SKIP_1) | instid1(TRANS32_DEP_1)
	v_rcp_f64_e32 v[40:41], v[36:37]
	v_nop
	v_fma_f64 v[42:43], -v[36:37], v[40:41], 1.0
	s_delay_alu instid0(VALU_DEP_1) | instskip(NEXT) | instid1(VALU_DEP_1)
	v_fmac_f64_e32 v[40:41], v[40:41], v[42:43]
	v_fma_f64 v[44:45], -v[36:37], v[40:41], 1.0
	s_delay_alu instid0(VALU_DEP_1) | instskip(SKIP_3) | instid1(VALU_DEP_2)
	v_fmac_f64_e32 v[40:41], v[40:41], v[44:45]
	s_wait_loadcnt 0x5
	v_mul_f64_e64 v[42:43], v[26:27], -v[22:23]
	v_mul_f64_e32 v[26:27], v[20:21], v[26:27]
	v_fmac_f64_e32 v[42:43], v[20:21], v[24:25]
	s_delay_alu instid0(VALU_DEP_2)
	v_fmac_f64_e32 v[26:27], v[22:23], v[24:25]
	v_div_scale_f64 v[24:25], vcc_lo, 1.0, v[18:19], 1.0
	s_wait_loadcnt 0x3
	v_mul_f64_e32 v[20:21], v[30:31], v[6:7]
	v_mul_f64_e64 v[22:23], v[30:31], -v[8:9]
	s_wait_loadcnt 0x2
	v_add_f64_e64 v[10:11], v[10:11], -v[42:43]
	v_add_f64_e64 v[12:13], v[12:13], -v[26:27]
	s_wait_loadcnt 0x0
	v_mul_f64_e64 v[26:27], v[34:35], -v[16:17]
	v_mul_f64_e32 v[30:31], v[34:35], v[14:15]
	v_fmac_f64_e32 v[20:21], v[8:9], v[28:29]
	v_fmac_f64_e32 v[22:23], v[6:7], v[28:29]
	v_mul_f64_e32 v[6:7], v[24:25], v[40:41]
	v_fmac_f64_e32 v[26:27], v[14:15], v[32:33]
	v_fmac_f64_e32 v[30:31], v[16:17], v[32:33]
	v_add_f64_e64 v[8:9], v[12:13], -v[20:21]
	v_add_f64_e64 v[10:11], v[10:11], -v[22:23]
	v_fma_f64 v[12:13], -v[36:37], v[6:7], v[24:25]
	s_delay_alu instid0(VALU_DEP_3) | instskip(NEXT) | instid1(VALU_DEP_3)
	v_add_f64_e64 v[14:15], v[8:9], -v[30:31]
	v_add_f64_e64 v[10:11], v[10:11], -v[26:27]
	s_delay_alu instid0(VALU_DEP_3)
	v_div_fmas_f64 v[12:13], v[12:13], v[40:41], v[6:7]
	v_mul_f64_e64 v[6:7], v[70:71], -v[4:5]
	v_mul_f64_e32 v[8:9], v[2:3], v[70:71]
	v_mul_f64_e32 v[16:17], v[52:53], v[14:15]
	v_mul_f64_e64 v[20:21], v[52:53], -v[10:11]
	v_div_fixup_f64 v[12:13], v[12:13], v[18:19], 1.0
	v_fmac_f64_e32 v[6:7], v[2:3], v[64:65]
	v_fmac_f64_e32 v[8:9], v[4:5], v[64:65]
	;; [unrolled: 1-line block ×4, first 2 shown]
	v_lshl_add_u64 v[10:11], v[38:39], 4, s[14:15]
	s_delay_alu instid0(VALU_DEP_3) | instskip(NEXT) | instid1(VALU_DEP_3)
	v_mul_f64_e32 v[2:3], v[16:17], v[12:13]
	v_mul_f64_e32 v[4:5], v[12:13], v[20:21]
	global_store_b128 v[10:11], v[6:9], off
	global_store_b128 v1, v[2:5], s[2:3] scale_offset
	s_cbranch_scc1 .LBB11_25
; %bb.23:
	s_add_co_i32 s4, s16, -5
	s_add_co_i32 s1, s16, -4
	;; [unrolled: 1-line block ×3, first 2 shown]
	s_wait_xcnt 0x0
	v_mad_u32 v1, s17, s4, v0
	v_mad_u32 v2, s18, s1, v0
	;; [unrolled: 1-line block ×5, first 2 shown]
	v_add_nc_u32_e32 v0, s0, v0
.LBB11_24:                              ; =>This Inner Loop Header: Depth=1
	s_wait_xcnt 0x0
	s_delay_alu instid0(VALU_DEP_2) | instskip(NEXT) | instid1(VALU_DEP_2)
	v_dual_add_nc_u32 v58, s19, v5 :: v_dual_add_nc_u32 v22, s19, v2
	v_dual_add_nc_u32 v46, s19, v1 :: v_dual_add_nc_u32 v47, s19, v0
	v_subrev_nc_u32_e32 v1, s17, v1
	s_clause 0x1
	global_load_b128 v[6:9], v58, s[6:7] scale_offset
	global_load_b128 v[10:13], v58, s[10:11] scale_offset
	;; [unrolled: 1-line block ×4, first 2 shown]
	s_wait_xcnt 0x1
	v_dual_add_nc_u32 v22, s19, v3 :: v_dual_add_nc_u32 v38, s19, v4
	v_subrev_nc_u32_e32 v2, s18, v2
	v_subrev_nc_u32_e32 v3, s18, v3
	;; [unrolled: 1-line block ×3, first 2 shown]
	s_clause 0x1
	global_load_b128 v[22:25], v22, s[2:3] scale_offset
	global_load_b128 v[26:29], v38, s[2:3] scale_offset
	global_load_b128 v[30:33], v46, s[12:13] scale_offset
	s_clause 0x1
	global_load_b128 v[34:37], v58, s[2:3] scale_offset
	global_load_b128 v[38:41], v47, s[2:3] scale_offset
	global_load_b128 v[42:45], v46, s[14:15] scale_offset
	v_subrev_nc_u32_e32 v0, s18, v0
	v_subrev_nc_u32_e32 v5, s18, v5
	s_add_co_i32 s1, s1, -1
	s_delay_alu instid0(SALU_CYCLE_1)
	s_cmp_lg_u32 s1, 0
	s_wait_loadcnt 0x9
	s_wait_xcnt 0x0
	v_mul_f64_e32 v[46:47], v[8:9], v[8:9]
	s_wait_loadcnt 0x6
	v_mul_f64_e32 v[52:53], v[16:17], v[18:19]
	v_mul_f64_e64 v[16:17], v[16:17], -v[20:21]
	s_wait_loadcnt 0x5
	v_mul_f64_e64 v[56:57], v[24:25], -v[12:13]
	v_mul_f64_e32 v[24:25], v[24:25], v[10:11]
	v_fmac_f64_e32 v[46:47], v[6:7], v[6:7]
	v_fmac_f64_e32 v[52:53], v[20:21], v[14:15]
	;; [unrolled: 1-line block ×3, first 2 shown]
	s_wait_loadcnt 0x3
	v_mul_f64_e64 v[14:15], v[28:29], -v[32:33]
	v_mul_f64_e32 v[18:19], v[28:29], v[30:31]
	s_wait_loadcnt 0x0
	v_mul_f64_e64 v[20:21], v[40:41], -v[44:45]
	v_fmac_f64_e32 v[56:57], v[10:11], v[22:23]
	v_fmac_f64_e32 v[24:25], v[12:13], v[22:23]
	v_mul_f64_e32 v[22:23], v[40:41], v[42:43]
	v_div_scale_f64 v[48:49], null, v[46:47], v[46:47], 1.0
	v_add_f64_e64 v[10:11], v[36:37], -v[52:53]
	v_add_f64_e64 v[12:13], v[34:35], -v[16:17]
	v_fmac_f64_e32 v[14:15], v[30:31], v[26:27]
	v_fmac_f64_e32 v[18:19], v[32:33], v[26:27]
	v_div_scale_f64 v[26:27], vcc_lo, 1.0, v[46:47], 1.0
	v_fmac_f64_e32 v[20:21], v[42:43], v[38:39]
	v_fmac_f64_e32 v[22:23], v[44:45], v[38:39]
	v_rcp_f64_e32 v[50:51], v[48:49]
	v_add_f64_e64 v[10:11], v[10:11], -v[24:25]
	v_add_f64_e64 v[12:13], v[12:13], -v[56:57]
	s_delay_alu instid0(VALU_DEP_2) | instskip(NEXT) | instid1(VALU_DEP_2)
	v_add_f64_e64 v[10:11], v[10:11], -v[18:19]
	v_add_f64_e64 v[12:13], v[12:13], -v[14:15]
	s_delay_alu instid0(TRANS32_DEP_1) | instskip(NEXT) | instid1(VALU_DEP_3)
	v_fma_f64 v[54:55], -v[48:49], v[50:51], 1.0
	v_add_f64_e64 v[10:11], v[10:11], -v[22:23]
	s_delay_alu instid0(VALU_DEP_3) | instskip(NEXT) | instid1(VALU_DEP_3)
	v_add_f64_e64 v[12:13], v[12:13], -v[20:21]
	v_fmac_f64_e32 v[50:51], v[50:51], v[54:55]
	s_delay_alu instid0(VALU_DEP_3) | instskip(NEXT) | instid1(VALU_DEP_3)
	v_mul_f64_e32 v[18:19], v[8:9], v[10:11]
	v_mul_f64_e64 v[8:9], v[8:9], -v[12:13]
	s_delay_alu instid0(VALU_DEP_3) | instskip(NEXT) | instid1(VALU_DEP_3)
	v_fma_f64 v[16:17], -v[48:49], v[50:51], 1.0
	v_fmac_f64_e32 v[18:19], v[12:13], v[6:7]
	s_delay_alu instid0(VALU_DEP_3) | instskip(NEXT) | instid1(VALU_DEP_3)
	v_fmac_f64_e32 v[8:9], v[10:11], v[6:7]
	v_fmac_f64_e32 v[50:51], v[50:51], v[16:17]
	s_delay_alu instid0(VALU_DEP_1) | instskip(NEXT) | instid1(VALU_DEP_1)
	v_mul_f64_e32 v[14:15], v[26:27], v[50:51]
	v_fma_f64 v[16:17], -v[48:49], v[14:15], v[26:27]
	s_delay_alu instid0(VALU_DEP_1) | instskip(NEXT) | instid1(VALU_DEP_1)
	v_div_fmas_f64 v[14:15], v[16:17], v[50:51], v[14:15]
	v_div_fixup_f64 v[10:11], v[14:15], v[46:47], 1.0
	s_delay_alu instid0(VALU_DEP_1)
	v_mul_f64_e32 v[6:7], v[18:19], v[10:11]
	v_mul_f64_e32 v[8:9], v[10:11], v[8:9]
	global_store_b128 v58, v[6:9], s[2:3] scale_offset
	s_cbranch_scc1 .LBB11_24
.LBB11_25:
	s_sendmsg sendmsg(MSG_DEALLOC_VGPRS)
	s_endpgm
	.section	.rodata,"a",@progbits
	.p2align	6, 0x0
	.amdhsa_kernel _ZN9rocsparseL39gpsv_interleaved_batch_givens_qr_kernelILj128E21rocsparse_complex_numIdEEEviiiPT0_S4_S4_S4_S4_S4_S4_S4_
		.amdhsa_group_segment_fixed_size 0
		.amdhsa_private_segment_fixed_size 0
		.amdhsa_kernarg_size 80
		.amdhsa_user_sgpr_count 2
		.amdhsa_user_sgpr_dispatch_ptr 0
		.amdhsa_user_sgpr_queue_ptr 0
		.amdhsa_user_sgpr_kernarg_segment_ptr 1
		.amdhsa_user_sgpr_dispatch_id 0
		.amdhsa_user_sgpr_kernarg_preload_length 0
		.amdhsa_user_sgpr_kernarg_preload_offset 0
		.amdhsa_user_sgpr_private_segment_size 0
		.amdhsa_wavefront_size32 1
		.amdhsa_uses_dynamic_stack 0
		.amdhsa_enable_private_segment 0
		.amdhsa_system_sgpr_workgroup_id_x 1
		.amdhsa_system_sgpr_workgroup_id_y 0
		.amdhsa_system_sgpr_workgroup_id_z 0
		.amdhsa_system_sgpr_workgroup_info 0
		.amdhsa_system_vgpr_workitem_id 0
		.amdhsa_next_free_vgpr 90
		.amdhsa_next_free_sgpr 25
		.amdhsa_named_barrier_count 0
		.amdhsa_reserve_vcc 1
		.amdhsa_float_round_mode_32 0
		.amdhsa_float_round_mode_16_64 0
		.amdhsa_float_denorm_mode_32 3
		.amdhsa_float_denorm_mode_16_64 3
		.amdhsa_fp16_overflow 0
		.amdhsa_memory_ordered 1
		.amdhsa_forward_progress 1
		.amdhsa_inst_pref_size 60
		.amdhsa_round_robin_scheduling 0
		.amdhsa_exception_fp_ieee_invalid_op 0
		.amdhsa_exception_fp_denorm_src 0
		.amdhsa_exception_fp_ieee_div_zero 0
		.amdhsa_exception_fp_ieee_overflow 0
		.amdhsa_exception_fp_ieee_underflow 0
		.amdhsa_exception_fp_ieee_inexact 0
		.amdhsa_exception_int_div_zero 0
	.end_amdhsa_kernel
	.section	.text._ZN9rocsparseL39gpsv_interleaved_batch_givens_qr_kernelILj128E21rocsparse_complex_numIdEEEviiiPT0_S4_S4_S4_S4_S4_S4_S4_,"axG",@progbits,_ZN9rocsparseL39gpsv_interleaved_batch_givens_qr_kernelILj128E21rocsparse_complex_numIdEEEviiiPT0_S4_S4_S4_S4_S4_S4_S4_,comdat
.Lfunc_end11:
	.size	_ZN9rocsparseL39gpsv_interleaved_batch_givens_qr_kernelILj128E21rocsparse_complex_numIdEEEviiiPT0_S4_S4_S4_S4_S4_S4_S4_, .Lfunc_end11-_ZN9rocsparseL39gpsv_interleaved_batch_givens_qr_kernelILj128E21rocsparse_complex_numIdEEEviiiPT0_S4_S4_S4_S4_S4_S4_S4_
                                        ; -- End function
	.set _ZN9rocsparseL39gpsv_interleaved_batch_givens_qr_kernelILj128E21rocsparse_complex_numIdEEEviiiPT0_S4_S4_S4_S4_S4_S4_S4_.num_vgpr, 90
	.set _ZN9rocsparseL39gpsv_interleaved_batch_givens_qr_kernelILj128E21rocsparse_complex_numIdEEEviiiPT0_S4_S4_S4_S4_S4_S4_S4_.num_agpr, 0
	.set _ZN9rocsparseL39gpsv_interleaved_batch_givens_qr_kernelILj128E21rocsparse_complex_numIdEEEviiiPT0_S4_S4_S4_S4_S4_S4_S4_.numbered_sgpr, 25
	.set _ZN9rocsparseL39gpsv_interleaved_batch_givens_qr_kernelILj128E21rocsparse_complex_numIdEEEviiiPT0_S4_S4_S4_S4_S4_S4_S4_.num_named_barrier, 0
	.set _ZN9rocsparseL39gpsv_interleaved_batch_givens_qr_kernelILj128E21rocsparse_complex_numIdEEEviiiPT0_S4_S4_S4_S4_S4_S4_S4_.private_seg_size, 0
	.set _ZN9rocsparseL39gpsv_interleaved_batch_givens_qr_kernelILj128E21rocsparse_complex_numIdEEEviiiPT0_S4_S4_S4_S4_S4_S4_S4_.uses_vcc, 1
	.set _ZN9rocsparseL39gpsv_interleaved_batch_givens_qr_kernelILj128E21rocsparse_complex_numIdEEEviiiPT0_S4_S4_S4_S4_S4_S4_S4_.uses_flat_scratch, 0
	.set _ZN9rocsparseL39gpsv_interleaved_batch_givens_qr_kernelILj128E21rocsparse_complex_numIdEEEviiiPT0_S4_S4_S4_S4_S4_S4_S4_.has_dyn_sized_stack, 0
	.set _ZN9rocsparseL39gpsv_interleaved_batch_givens_qr_kernelILj128E21rocsparse_complex_numIdEEEviiiPT0_S4_S4_S4_S4_S4_S4_S4_.has_recursion, 0
	.set _ZN9rocsparseL39gpsv_interleaved_batch_givens_qr_kernelILj128E21rocsparse_complex_numIdEEEviiiPT0_S4_S4_S4_S4_S4_S4_S4_.has_indirect_call, 0
	.section	.AMDGPU.csdata,"",@progbits
; Kernel info:
; codeLenInByte = 7568
; TotalNumSgprs: 27
; NumVgprs: 90
; ScratchSize: 0
; MemoryBound: 0
; FloatMode: 240
; IeeeMode: 1
; LDSByteSize: 0 bytes/workgroup (compile time only)
; SGPRBlocks: 0
; VGPRBlocks: 5
; NumSGPRsForWavesPerEU: 27
; NumVGPRsForWavesPerEU: 90
; NamedBarCnt: 0
; Occupancy: 10
; WaveLimiterHint : 0
; COMPUTE_PGM_RSRC2:SCRATCH_EN: 0
; COMPUTE_PGM_RSRC2:USER_SGPR: 2
; COMPUTE_PGM_RSRC2:TRAP_HANDLER: 0
; COMPUTE_PGM_RSRC2:TGID_X_EN: 1
; COMPUTE_PGM_RSRC2:TGID_Y_EN: 0
; COMPUTE_PGM_RSRC2:TGID_Z_EN: 0
; COMPUTE_PGM_RSRC2:TIDIG_COMP_CNT: 0
	.section	.AMDGPU.gpr_maximums,"",@progbits
	.set amdgpu.max_num_vgpr, 0
	.set amdgpu.max_num_agpr, 0
	.set amdgpu.max_num_sgpr, 0
	.section	.AMDGPU.csdata,"",@progbits
	.type	__hip_cuid_c65da0877d4f725e,@object ; @__hip_cuid_c65da0877d4f725e
	.section	.bss,"aw",@nobits
	.globl	__hip_cuid_c65da0877d4f725e
__hip_cuid_c65da0877d4f725e:
	.byte	0                               ; 0x0
	.size	__hip_cuid_c65da0877d4f725e, 1

	.ident	"AMD clang version 22.0.0git (https://github.com/RadeonOpenCompute/llvm-project roc-7.2.4 26084 f58b06dce1f9c15707c5f808fd002e18c2accf7e)"
	.section	".note.GNU-stack","",@progbits
	.addrsig
	.addrsig_sym __hip_cuid_c65da0877d4f725e
	.amdgpu_metadata
---
amdhsa.kernels:
  - .args:
      - .offset:         0
        .size:           4
        .value_kind:     by_value
      - .offset:         4
        .size:           4
        .value_kind:     by_value
      - .offset:         8
        .size:           4
        .value_kind:     by_value
      - .actual_access:  read_only
        .address_space:  global
        .offset:         16
        .size:           8
        .value_kind:     global_buffer
      - .actual_access:  write_only
        .address_space:  global
        .offset:         24
        .size:           8
        .value_kind:     global_buffer
      - .offset:         32
        .size:           4
        .value_kind:     hidden_block_count_x
      - .offset:         36
        .size:           4
        .value_kind:     hidden_block_count_y
      - .offset:         40
        .size:           4
        .value_kind:     hidden_block_count_z
      - .offset:         44
        .size:           2
        .value_kind:     hidden_group_size_x
      - .offset:         46
        .size:           2
        .value_kind:     hidden_group_size_y
      - .offset:         48
        .size:           2
        .value_kind:     hidden_group_size_z
      - .offset:         50
        .size:           2
        .value_kind:     hidden_remainder_x
      - .offset:         52
        .size:           2
        .value_kind:     hidden_remainder_y
      - .offset:         54
        .size:           2
        .value_kind:     hidden_remainder_z
      - .offset:         72
        .size:           8
        .value_kind:     hidden_global_offset_x
      - .offset:         80
        .size:           8
        .value_kind:     hidden_global_offset_y
      - .offset:         88
        .size:           8
        .value_kind:     hidden_global_offset_z
      - .offset:         96
        .size:           2
        .value_kind:     hidden_grid_dims
    .group_segment_fixed_size: 0
    .kernarg_segment_align: 8
    .kernarg_segment_size: 288
    .language:       OpenCL C
    .language_version:
      - 2
      - 0
    .max_flat_workgroup_size: 256
    .name:           _ZN9rocsparseL19gpsv_strided_gatherILj256EfEEviiiPKT0_PS1_
    .private_segment_fixed_size: 0
    .sgpr_count:     13
    .sgpr_spill_count: 0
    .symbol:         _ZN9rocsparseL19gpsv_strided_gatherILj256EfEEviiiPKT0_PS1_.kd
    .uniform_work_group_size: 1
    .uses_dynamic_stack: false
    .vgpr_count:     8
    .vgpr_spill_count: 0
    .wavefront_size: 32
  - .args:
      - .offset:         0
        .size:           4
        .value_kind:     by_value
      - .offset:         4
        .size:           4
        .value_kind:     by_value
      - .offset:         8
        .size:           4
        .value_kind:     by_value
      - .address_space:  global
        .offset:         16
        .size:           8
        .value_kind:     global_buffer
      - .address_space:  global
        .offset:         24
        .size:           8
        .value_kind:     global_buffer
      - .address_space:  global
        .offset:         32
        .size:           8
        .value_kind:     global_buffer
      - .address_space:  global
        .offset:         40
        .size:           8
        .value_kind:     global_buffer
      - .address_space:  global
        .offset:         48
        .size:           8
        .value_kind:     global_buffer
      - .address_space:  global
        .offset:         56
        .size:           8
        .value_kind:     global_buffer
      - .address_space:  global
        .offset:         64
        .size:           8
        .value_kind:     global_buffer
      - .address_space:  global
        .offset:         72
        .size:           8
        .value_kind:     global_buffer
      - .address_space:  global
        .offset:         80
        .size:           8
        .value_kind:     global_buffer
      - .offset:         88
        .size:           4
        .value_kind:     hidden_block_count_x
      - .offset:         92
        .size:           4
        .value_kind:     hidden_block_count_y
      - .offset:         96
        .size:           4
        .value_kind:     hidden_block_count_z
      - .offset:         100
        .size:           2
        .value_kind:     hidden_group_size_x
      - .offset:         102
        .size:           2
        .value_kind:     hidden_group_size_y
      - .offset:         104
        .size:           2
        .value_kind:     hidden_group_size_z
      - .offset:         106
        .size:           2
        .value_kind:     hidden_remainder_x
      - .offset:         108
        .size:           2
        .value_kind:     hidden_remainder_y
      - .offset:         110
        .size:           2
        .value_kind:     hidden_remainder_z
      - .offset:         128
        .size:           8
        .value_kind:     hidden_global_offset_x
      - .offset:         136
        .size:           8
        .value_kind:     hidden_global_offset_y
      - .offset:         144
        .size:           8
        .value_kind:     hidden_global_offset_z
      - .offset:         152
        .size:           2
        .value_kind:     hidden_grid_dims
    .group_segment_fixed_size: 0
    .kernarg_segment_align: 8
    .kernarg_segment_size: 344
    .language:       OpenCL C
    .language_version:
      - 2
      - 0
    .max_flat_workgroup_size: 256
    .name:           _ZN9rocsparseL44gpsv_interleaved_batch_householder_qr_kernelILj256EfEEviiiPT0_S2_S2_S2_S2_S2_S2_S2_S2_
    .private_segment_fixed_size: 0
    .sgpr_count:     28
    .sgpr_spill_count: 0
    .symbol:         _ZN9rocsparseL44gpsv_interleaved_batch_householder_qr_kernelILj256EfEEviiiPT0_S2_S2_S2_S2_S2_S2_S2_S2_.kd
    .uniform_work_group_size: 1
    .uses_dynamic_stack: false
    .vgpr_count:     62
    .vgpr_spill_count: 0
    .wavefront_size: 32
  - .args:
      - .offset:         0
        .size:           4
        .value_kind:     by_value
      - .offset:         4
        .size:           4
        .value_kind:     by_value
      - .offset:         8
        .size:           4
        .value_kind:     by_value
      - .actual_access:  read_only
        .address_space:  global
        .offset:         16
        .size:           8
        .value_kind:     global_buffer
      - .address_space:  global
        .offset:         24
        .size:           8
        .value_kind:     global_buffer
      - .address_space:  global
        .offset:         32
        .size:           8
        .value_kind:     global_buffer
      - .address_space:  global
        .offset:         40
        .size:           8
        .value_kind:     global_buffer
      - .address_space:  global
        .offset:         48
        .size:           8
        .value_kind:     global_buffer
      - .address_space:  global
        .offset:         56
        .size:           8
        .value_kind:     global_buffer
      - .address_space:  global
        .offset:         64
        .size:           8
        .value_kind:     global_buffer
      - .address_space:  global
        .offset:         72
        .size:           8
        .value_kind:     global_buffer
    .group_segment_fixed_size: 0
    .kernarg_segment_align: 8
    .kernarg_segment_size: 80
    .language:       OpenCL C
    .language_version:
      - 2
      - 0
    .max_flat_workgroup_size: 128
    .name:           _ZN9rocsparseL39gpsv_interleaved_batch_givens_qr_kernelILj128EfEEviiiPT0_S2_S2_S2_S2_S2_S2_S2_
    .private_segment_fixed_size: 0
    .sgpr_count:     26
    .sgpr_spill_count: 0
    .symbol:         _ZN9rocsparseL39gpsv_interleaved_batch_givens_qr_kernelILj128EfEEviiiPT0_S2_S2_S2_S2_S2_S2_S2_.kd
    .uniform_work_group_size: 1
    .uses_dynamic_stack: false
    .vgpr_count:     33
    .vgpr_spill_count: 0
    .wavefront_size: 32
  - .args:
      - .offset:         0
        .size:           4
        .value_kind:     by_value
      - .offset:         4
        .size:           4
        .value_kind:     by_value
      - .offset:         8
        .size:           4
        .value_kind:     by_value
      - .actual_access:  read_only
        .address_space:  global
        .offset:         16
        .size:           8
        .value_kind:     global_buffer
      - .actual_access:  write_only
        .address_space:  global
        .offset:         24
        .size:           8
        .value_kind:     global_buffer
      - .offset:         32
        .size:           4
        .value_kind:     hidden_block_count_x
      - .offset:         36
        .size:           4
        .value_kind:     hidden_block_count_y
      - .offset:         40
        .size:           4
        .value_kind:     hidden_block_count_z
      - .offset:         44
        .size:           2
        .value_kind:     hidden_group_size_x
      - .offset:         46
        .size:           2
        .value_kind:     hidden_group_size_y
      - .offset:         48
        .size:           2
        .value_kind:     hidden_group_size_z
      - .offset:         50
        .size:           2
        .value_kind:     hidden_remainder_x
      - .offset:         52
        .size:           2
        .value_kind:     hidden_remainder_y
      - .offset:         54
        .size:           2
        .value_kind:     hidden_remainder_z
      - .offset:         72
        .size:           8
        .value_kind:     hidden_global_offset_x
      - .offset:         80
        .size:           8
        .value_kind:     hidden_global_offset_y
      - .offset:         88
        .size:           8
        .value_kind:     hidden_global_offset_z
      - .offset:         96
        .size:           2
        .value_kind:     hidden_grid_dims
    .group_segment_fixed_size: 0
    .kernarg_segment_align: 8
    .kernarg_segment_size: 288
    .language:       OpenCL C
    .language_version:
      - 2
      - 0
    .max_flat_workgroup_size: 256
    .name:           _ZN9rocsparseL19gpsv_strided_gatherILj256EdEEviiiPKT0_PS1_
    .private_segment_fixed_size: 0
    .sgpr_count:     11
    .sgpr_spill_count: 0
    .symbol:         _ZN9rocsparseL19gpsv_strided_gatherILj256EdEEviiiPKT0_PS1_.kd
    .uniform_work_group_size: 1
    .uses_dynamic_stack: false
    .vgpr_count:     4
    .vgpr_spill_count: 0
    .wavefront_size: 32
  - .args:
      - .offset:         0
        .size:           4
        .value_kind:     by_value
      - .offset:         4
        .size:           4
        .value_kind:     by_value
      - .offset:         8
        .size:           4
        .value_kind:     by_value
      - .address_space:  global
        .offset:         16
        .size:           8
        .value_kind:     global_buffer
      - .address_space:  global
        .offset:         24
        .size:           8
        .value_kind:     global_buffer
      - .address_space:  global
        .offset:         32
        .size:           8
        .value_kind:     global_buffer
      - .address_space:  global
        .offset:         40
        .size:           8
        .value_kind:     global_buffer
      - .address_space:  global
        .offset:         48
        .size:           8
        .value_kind:     global_buffer
      - .address_space:  global
        .offset:         56
        .size:           8
        .value_kind:     global_buffer
      - .address_space:  global
        .offset:         64
        .size:           8
        .value_kind:     global_buffer
      - .address_space:  global
        .offset:         72
        .size:           8
        .value_kind:     global_buffer
      - .address_space:  global
        .offset:         80
        .size:           8
        .value_kind:     global_buffer
      - .offset:         88
        .size:           4
        .value_kind:     hidden_block_count_x
      - .offset:         92
        .size:           4
        .value_kind:     hidden_block_count_y
      - .offset:         96
        .size:           4
        .value_kind:     hidden_block_count_z
      - .offset:         100
        .size:           2
        .value_kind:     hidden_group_size_x
      - .offset:         102
        .size:           2
        .value_kind:     hidden_group_size_y
      - .offset:         104
        .size:           2
        .value_kind:     hidden_group_size_z
      - .offset:         106
        .size:           2
        .value_kind:     hidden_remainder_x
      - .offset:         108
        .size:           2
        .value_kind:     hidden_remainder_y
      - .offset:         110
        .size:           2
        .value_kind:     hidden_remainder_z
      - .offset:         128
        .size:           8
        .value_kind:     hidden_global_offset_x
      - .offset:         136
        .size:           8
        .value_kind:     hidden_global_offset_y
      - .offset:         144
        .size:           8
        .value_kind:     hidden_global_offset_z
      - .offset:         152
        .size:           2
        .value_kind:     hidden_grid_dims
    .group_segment_fixed_size: 0
    .kernarg_segment_align: 8
    .kernarg_segment_size: 344
    .language:       OpenCL C
    .language_version:
      - 2
      - 0
    .max_flat_workgroup_size: 256
    .name:           _ZN9rocsparseL44gpsv_interleaved_batch_householder_qr_kernelILj256EdEEviiiPT0_S2_S2_S2_S2_S2_S2_S2_S2_
    .private_segment_fixed_size: 0
    .sgpr_count:     29
    .sgpr_spill_count: 0
    .symbol:         _ZN9rocsparseL44gpsv_interleaved_batch_householder_qr_kernelILj256EdEEviiiPT0_S2_S2_S2_S2_S2_S2_S2_S2_.kd
    .uniform_work_group_size: 1
    .uses_dynamic_stack: false
    .vgpr_count:     85
    .vgpr_spill_count: 0
    .wavefront_size: 32
  - .args:
      - .offset:         0
        .size:           4
        .value_kind:     by_value
      - .offset:         4
        .size:           4
        .value_kind:     by_value
      - .offset:         8
        .size:           4
        .value_kind:     by_value
      - .actual_access:  read_only
        .address_space:  global
        .offset:         16
        .size:           8
        .value_kind:     global_buffer
      - .address_space:  global
        .offset:         24
        .size:           8
        .value_kind:     global_buffer
      - .address_space:  global
        .offset:         32
        .size:           8
        .value_kind:     global_buffer
      - .address_space:  global
        .offset:         40
        .size:           8
        .value_kind:     global_buffer
      - .address_space:  global
        .offset:         48
        .size:           8
        .value_kind:     global_buffer
      - .address_space:  global
        .offset:         56
        .size:           8
        .value_kind:     global_buffer
      - .address_space:  global
        .offset:         64
        .size:           8
        .value_kind:     global_buffer
      - .address_space:  global
        .offset:         72
        .size:           8
        .value_kind:     global_buffer
    .group_segment_fixed_size: 0
    .kernarg_segment_align: 8
    .kernarg_segment_size: 80
    .language:       OpenCL C
    .language_version:
      - 2
      - 0
    .max_flat_workgroup_size: 128
    .name:           _ZN9rocsparseL39gpsv_interleaved_batch_givens_qr_kernelILj128EdEEviiiPT0_S2_S2_S2_S2_S2_S2_S2_
    .private_segment_fixed_size: 0
    .sgpr_count:     26
    .sgpr_spill_count: 0
    .symbol:         _ZN9rocsparseL39gpsv_interleaved_batch_givens_qr_kernelILj128EdEEviiiPT0_S2_S2_S2_S2_S2_S2_S2_.kd
    .uniform_work_group_size: 1
    .uses_dynamic_stack: false
    .vgpr_count:     55
    .vgpr_spill_count: 0
    .wavefront_size: 32
  - .args:
      - .offset:         0
        .size:           4
        .value_kind:     by_value
      - .offset:         4
        .size:           4
        .value_kind:     by_value
      - .offset:         8
        .size:           4
        .value_kind:     by_value
      - .actual_access:  read_only
        .address_space:  global
        .offset:         16
        .size:           8
        .value_kind:     global_buffer
      - .actual_access:  write_only
        .address_space:  global
        .offset:         24
        .size:           8
        .value_kind:     global_buffer
      - .offset:         32
        .size:           4
        .value_kind:     hidden_block_count_x
      - .offset:         36
        .size:           4
        .value_kind:     hidden_block_count_y
      - .offset:         40
        .size:           4
        .value_kind:     hidden_block_count_z
      - .offset:         44
        .size:           2
        .value_kind:     hidden_group_size_x
      - .offset:         46
        .size:           2
        .value_kind:     hidden_group_size_y
      - .offset:         48
        .size:           2
        .value_kind:     hidden_group_size_z
      - .offset:         50
        .size:           2
        .value_kind:     hidden_remainder_x
      - .offset:         52
        .size:           2
        .value_kind:     hidden_remainder_y
      - .offset:         54
        .size:           2
        .value_kind:     hidden_remainder_z
      - .offset:         72
        .size:           8
        .value_kind:     hidden_global_offset_x
      - .offset:         80
        .size:           8
        .value_kind:     hidden_global_offset_y
      - .offset:         88
        .size:           8
        .value_kind:     hidden_global_offset_z
      - .offset:         96
        .size:           2
        .value_kind:     hidden_grid_dims
    .group_segment_fixed_size: 0
    .kernarg_segment_align: 8
    .kernarg_segment_size: 288
    .language:       OpenCL C
    .language_version:
      - 2
      - 0
    .max_flat_workgroup_size: 256
    .name:           _ZN9rocsparseL19gpsv_strided_gatherILj256E21rocsparse_complex_numIfEEEviiiPKT0_PS3_
    .private_segment_fixed_size: 0
    .sgpr_count:     11
    .sgpr_spill_count: 0
    .symbol:         _ZN9rocsparseL19gpsv_strided_gatherILj256E21rocsparse_complex_numIfEEEviiiPKT0_PS3_.kd
    .uniform_work_group_size: 1
    .uses_dynamic_stack: false
    .vgpr_count:     4
    .vgpr_spill_count: 0
    .wavefront_size: 32
  - .args:
      - .offset:         0
        .size:           4
        .value_kind:     by_value
      - .offset:         4
        .size:           4
        .value_kind:     by_value
      - .offset:         8
        .size:           4
        .value_kind:     by_value
      - .address_space:  global
        .offset:         16
        .size:           8
        .value_kind:     global_buffer
      - .address_space:  global
        .offset:         24
        .size:           8
        .value_kind:     global_buffer
      - .address_space:  global
        .offset:         32
        .size:           8
        .value_kind:     global_buffer
      - .address_space:  global
        .offset:         40
        .size:           8
        .value_kind:     global_buffer
      - .address_space:  global
        .offset:         48
        .size:           8
        .value_kind:     global_buffer
      - .address_space:  global
        .offset:         56
        .size:           8
        .value_kind:     global_buffer
      - .address_space:  global
        .offset:         64
        .size:           8
        .value_kind:     global_buffer
      - .address_space:  global
        .offset:         72
        .size:           8
        .value_kind:     global_buffer
      - .address_space:  global
        .offset:         80
        .size:           8
        .value_kind:     global_buffer
      - .offset:         88
        .size:           4
        .value_kind:     hidden_block_count_x
      - .offset:         92
        .size:           4
        .value_kind:     hidden_block_count_y
      - .offset:         96
        .size:           4
        .value_kind:     hidden_block_count_z
      - .offset:         100
        .size:           2
        .value_kind:     hidden_group_size_x
      - .offset:         102
        .size:           2
        .value_kind:     hidden_group_size_y
      - .offset:         104
        .size:           2
        .value_kind:     hidden_group_size_z
      - .offset:         106
        .size:           2
        .value_kind:     hidden_remainder_x
      - .offset:         108
        .size:           2
        .value_kind:     hidden_remainder_y
      - .offset:         110
        .size:           2
        .value_kind:     hidden_remainder_z
      - .offset:         128
        .size:           8
        .value_kind:     hidden_global_offset_x
      - .offset:         136
        .size:           8
        .value_kind:     hidden_global_offset_y
      - .offset:         144
        .size:           8
        .value_kind:     hidden_global_offset_z
      - .offset:         152
        .size:           2
        .value_kind:     hidden_grid_dims
    .group_segment_fixed_size: 0
    .kernarg_segment_align: 8
    .kernarg_segment_size: 344
    .language:       OpenCL C
    .language_version:
      - 2
      - 0
    .max_flat_workgroup_size: 256
    .name:           _ZN9rocsparseL44gpsv_interleaved_batch_householder_qr_kernelILj256E21rocsparse_complex_numIfEEEviiiPT0_S4_S4_S4_S4_S4_S4_S4_S4_
    .private_segment_fixed_size: 0
    .sgpr_count:     30
    .sgpr_spill_count: 0
    .symbol:         _ZN9rocsparseL44gpsv_interleaved_batch_householder_qr_kernelILj256E21rocsparse_complex_numIfEEEviiiPT0_S4_S4_S4_S4_S4_S4_S4_S4_.kd
    .uniform_work_group_size: 1
    .uses_dynamic_stack: false
    .vgpr_count:     76
    .vgpr_spill_count: 0
    .wavefront_size: 32
  - .args:
      - .offset:         0
        .size:           4
        .value_kind:     by_value
      - .offset:         4
        .size:           4
        .value_kind:     by_value
      - .offset:         8
        .size:           4
        .value_kind:     by_value
      - .actual_access:  read_only
        .address_space:  global
        .offset:         16
        .size:           8
        .value_kind:     global_buffer
      - .address_space:  global
        .offset:         24
        .size:           8
        .value_kind:     global_buffer
      - .address_space:  global
        .offset:         32
        .size:           8
        .value_kind:     global_buffer
      - .address_space:  global
        .offset:         40
        .size:           8
        .value_kind:     global_buffer
      - .address_space:  global
        .offset:         48
        .size:           8
        .value_kind:     global_buffer
      - .address_space:  global
        .offset:         56
        .size:           8
        .value_kind:     global_buffer
      - .address_space:  global
        .offset:         64
        .size:           8
        .value_kind:     global_buffer
      - .address_space:  global
        .offset:         72
        .size:           8
        .value_kind:     global_buffer
    .group_segment_fixed_size: 0
    .kernarg_segment_align: 8
    .kernarg_segment_size: 80
    .language:       OpenCL C
    .language_version:
      - 2
      - 0
    .max_flat_workgroup_size: 128
    .name:           _ZN9rocsparseL39gpsv_interleaved_batch_givens_qr_kernelILj128E21rocsparse_complex_numIfEEEviiiPT0_S4_S4_S4_S4_S4_S4_S4_
    .private_segment_fixed_size: 0
    .sgpr_count:     28
    .sgpr_spill_count: 0
    .symbol:         _ZN9rocsparseL39gpsv_interleaved_batch_givens_qr_kernelILj128E21rocsparse_complex_numIfEEEviiiPT0_S4_S4_S4_S4_S4_S4_S4_.kd
    .uniform_work_group_size: 1
    .uses_dynamic_stack: false
    .vgpr_count:     66
    .vgpr_spill_count: 0
    .wavefront_size: 32
  - .args:
      - .offset:         0
        .size:           4
        .value_kind:     by_value
      - .offset:         4
        .size:           4
        .value_kind:     by_value
      - .offset:         8
        .size:           4
        .value_kind:     by_value
      - .actual_access:  read_only
        .address_space:  global
        .offset:         16
        .size:           8
        .value_kind:     global_buffer
      - .actual_access:  write_only
        .address_space:  global
        .offset:         24
        .size:           8
        .value_kind:     global_buffer
      - .offset:         32
        .size:           4
        .value_kind:     hidden_block_count_x
      - .offset:         36
        .size:           4
        .value_kind:     hidden_block_count_y
      - .offset:         40
        .size:           4
        .value_kind:     hidden_block_count_z
      - .offset:         44
        .size:           2
        .value_kind:     hidden_group_size_x
      - .offset:         46
        .size:           2
        .value_kind:     hidden_group_size_y
      - .offset:         48
        .size:           2
        .value_kind:     hidden_group_size_z
      - .offset:         50
        .size:           2
        .value_kind:     hidden_remainder_x
      - .offset:         52
        .size:           2
        .value_kind:     hidden_remainder_y
      - .offset:         54
        .size:           2
        .value_kind:     hidden_remainder_z
      - .offset:         72
        .size:           8
        .value_kind:     hidden_global_offset_x
      - .offset:         80
        .size:           8
        .value_kind:     hidden_global_offset_y
      - .offset:         88
        .size:           8
        .value_kind:     hidden_global_offset_z
      - .offset:         96
        .size:           2
        .value_kind:     hidden_grid_dims
    .group_segment_fixed_size: 0
    .kernarg_segment_align: 8
    .kernarg_segment_size: 288
    .language:       OpenCL C
    .language_version:
      - 2
      - 0
    .max_flat_workgroup_size: 256
    .name:           _ZN9rocsparseL19gpsv_strided_gatherILj256E21rocsparse_complex_numIdEEEviiiPKT0_PS3_
    .private_segment_fixed_size: 0
    .sgpr_count:     11
    .sgpr_spill_count: 0
    .symbol:         _ZN9rocsparseL19gpsv_strided_gatherILj256E21rocsparse_complex_numIdEEEviiiPKT0_PS3_.kd
    .uniform_work_group_size: 1
    .uses_dynamic_stack: false
    .vgpr_count:     6
    .vgpr_spill_count: 0
    .wavefront_size: 32
  - .args:
      - .offset:         0
        .size:           4
        .value_kind:     by_value
      - .offset:         4
        .size:           4
        .value_kind:     by_value
      - .offset:         8
        .size:           4
        .value_kind:     by_value
      - .address_space:  global
        .offset:         16
        .size:           8
        .value_kind:     global_buffer
      - .address_space:  global
        .offset:         24
        .size:           8
        .value_kind:     global_buffer
      - .address_space:  global
        .offset:         32
        .size:           8
        .value_kind:     global_buffer
      - .address_space:  global
        .offset:         40
        .size:           8
        .value_kind:     global_buffer
      - .address_space:  global
        .offset:         48
        .size:           8
        .value_kind:     global_buffer
      - .address_space:  global
        .offset:         56
        .size:           8
        .value_kind:     global_buffer
      - .address_space:  global
        .offset:         64
        .size:           8
        .value_kind:     global_buffer
      - .address_space:  global
        .offset:         72
        .size:           8
        .value_kind:     global_buffer
      - .address_space:  global
        .offset:         80
        .size:           8
        .value_kind:     global_buffer
      - .offset:         88
        .size:           4
        .value_kind:     hidden_block_count_x
      - .offset:         92
        .size:           4
        .value_kind:     hidden_block_count_y
      - .offset:         96
        .size:           4
        .value_kind:     hidden_block_count_z
      - .offset:         100
        .size:           2
        .value_kind:     hidden_group_size_x
      - .offset:         102
        .size:           2
        .value_kind:     hidden_group_size_y
      - .offset:         104
        .size:           2
        .value_kind:     hidden_group_size_z
      - .offset:         106
        .size:           2
        .value_kind:     hidden_remainder_x
      - .offset:         108
        .size:           2
        .value_kind:     hidden_remainder_y
      - .offset:         110
        .size:           2
        .value_kind:     hidden_remainder_z
      - .offset:         128
        .size:           8
        .value_kind:     hidden_global_offset_x
      - .offset:         136
        .size:           8
        .value_kind:     hidden_global_offset_y
      - .offset:         144
        .size:           8
        .value_kind:     hidden_global_offset_z
      - .offset:         152
        .size:           2
        .value_kind:     hidden_grid_dims
    .group_segment_fixed_size: 0
    .kernarg_segment_align: 8
    .kernarg_segment_size: 344
    .language:       OpenCL C
    .language_version:
      - 2
      - 0
    .max_flat_workgroup_size: 256
    .name:           _ZN9rocsparseL44gpsv_interleaved_batch_householder_qr_kernelILj256E21rocsparse_complex_numIdEEEviiiPT0_S4_S4_S4_S4_S4_S4_S4_S4_
    .private_segment_fixed_size: 0
    .sgpr_count:     31
    .sgpr_spill_count: 0
    .symbol:         _ZN9rocsparseL44gpsv_interleaved_batch_householder_qr_kernelILj256E21rocsparse_complex_numIdEEEviiiPT0_S4_S4_S4_S4_S4_S4_S4_S4_.kd
    .uniform_work_group_size: 1
    .uses_dynamic_stack: false
    .vgpr_count:     116
    .vgpr_spill_count: 0
    .wavefront_size: 32
  - .args:
      - .offset:         0
        .size:           4
        .value_kind:     by_value
      - .offset:         4
        .size:           4
        .value_kind:     by_value
      - .offset:         8
        .size:           4
        .value_kind:     by_value
      - .actual_access:  read_only
        .address_space:  global
        .offset:         16
        .size:           8
        .value_kind:     global_buffer
      - .address_space:  global
        .offset:         24
        .size:           8
        .value_kind:     global_buffer
      - .address_space:  global
        .offset:         32
        .size:           8
        .value_kind:     global_buffer
      - .address_space:  global
        .offset:         40
        .size:           8
        .value_kind:     global_buffer
      - .address_space:  global
        .offset:         48
        .size:           8
        .value_kind:     global_buffer
      - .address_space:  global
        .offset:         56
        .size:           8
        .value_kind:     global_buffer
      - .address_space:  global
        .offset:         64
        .size:           8
        .value_kind:     global_buffer
      - .address_space:  global
        .offset:         72
        .size:           8
        .value_kind:     global_buffer
    .group_segment_fixed_size: 0
    .kernarg_segment_align: 8
    .kernarg_segment_size: 80
    .language:       OpenCL C
    .language_version:
      - 2
      - 0
    .max_flat_workgroup_size: 128
    .name:           _ZN9rocsparseL39gpsv_interleaved_batch_givens_qr_kernelILj128E21rocsparse_complex_numIdEEEviiiPT0_S4_S4_S4_S4_S4_S4_S4_
    .private_segment_fixed_size: 0
    .sgpr_count:     27
    .sgpr_spill_count: 0
    .symbol:         _ZN9rocsparseL39gpsv_interleaved_batch_givens_qr_kernelILj128E21rocsparse_complex_numIdEEEviiiPT0_S4_S4_S4_S4_S4_S4_S4_.kd
    .uniform_work_group_size: 1
    .uses_dynamic_stack: false
    .vgpr_count:     90
    .vgpr_spill_count: 0
    .wavefront_size: 32
amdhsa.target:   amdgcn-amd-amdhsa--gfx1250
amdhsa.version:
  - 1
  - 2
...

	.end_amdgpu_metadata
